;; amdgpu-corpus repo=ROCm/rocFFT kind=compiled arch=gfx1030 opt=O3
	.text
	.amdgcn_target "amdgcn-amd-amdhsa--gfx1030"
	.amdhsa_code_object_version 6
	.protected	bluestein_single_fwd_len1375_dim1_half_op_CI_CI ; -- Begin function bluestein_single_fwd_len1375_dim1_half_op_CI_CI
	.globl	bluestein_single_fwd_len1375_dim1_half_op_CI_CI
	.p2align	8
	.type	bluestein_single_fwd_len1375_dim1_half_op_CI_CI,@function
bluestein_single_fwd_len1375_dim1_half_op_CI_CI: ; @bluestein_single_fwd_len1375_dim1_half_op_CI_CI
; %bb.0:
	s_load_dwordx4 s[8:11], s[4:5], 0x28
	v_mul_u32_u24_e32 v1, 0x4a8, v0
	v_mov_b32_e32 v63, 0
	s_mov_b32 s0, exec_lo
	v_lshrrev_b32_e32 v1, 16, v1
	v_add_nc_u32_e32 v62, s6, v1
	s_waitcnt lgkmcnt(0)
	v_cmpx_gt_u64_e64 s[8:9], v[62:63]
	s_cbranch_execz .LBB0_15
; %bb.1:
	s_clause 0x1
	s_load_dwordx4 s[0:3], s[4:5], 0x18
	s_load_dwordx2 s[6:7], s[4:5], 0x0
	v_mul_lo_u16 v1, v1, 55
	v_sub_nc_u16 v2, v0, v1
	v_and_b32_e32 v115, 0xffff, v2
	v_lshlrev_b32_e32 v95, 2, v115
	v_or_b32_e32 v96, 0x550, v115
	s_waitcnt lgkmcnt(0)
	s_load_dwordx4 s[12:15], s[0:1], 0x0
	v_add_co_u32 v60, s0, s6, v95
	v_add_co_ci_u32_e64 v61, null, s7, 0, s0
	s_clause 0x6
	global_load_dword v119, v95, s[6:7]
	global_load_dword v118, v95, s[6:7] offset:500
	global_load_dword v116, v95, s[6:7] offset:1000
	global_load_dword v113, v95, s[6:7] offset:2000
	global_load_dword v104, v95, s[6:7] offset:1720
	global_load_dword v117, v95, s[6:7] offset:1500
	global_load_dword v105, v95, s[6:7] offset:1220
	s_waitcnt lgkmcnt(0)
	v_mad_u64_u32 v[0:1], null, s14, v62, 0
	v_mad_u64_u32 v[3:4], null, s12, v115, 0
	s_mul_i32 s1, s13, 0x7d
	s_mul_hi_u32 s8, s12, 0x7d
	s_mul_i32 s0, s12, 0x7d
	s_add_i32 s1, s8, s1
	v_mad_u64_u32 v[5:6], null, s15, v62, v[1:2]
	s_lshl_b64 s[16:17], s[0:1], 2
	s_mul_hi_u32 s0, s12, 0xfffffb55
	s_mul_i32 s1, s13, 0xfffffb55
	s_sub_i32 s8, s0, s12
	s_mul_i32 s0, s12, 0xfffffb55
	s_add_i32 s1, s8, s1
	v_mad_u64_u32 v[6:7], null, s13, v115, v[4:5]
	v_mov_b32_e32 v1, v5
	s_lshl_b64 s[0:1], s[0:1], 2
	s_load_dwordx2 s[14:15], s[4:5], 0x38
	v_lshlrev_b64 v[0:1], 2, v[0:1]
	v_mov_b32_e32 v4, v6
	v_lshlrev_b64 v[5:6], 2, v[3:4]
	v_add_co_u32 v3, vcc_lo, s10, v0
	v_add_co_ci_u32_e32 v4, vcc_lo, s11, v1, vcc_lo
	v_add_co_u32 v0, vcc_lo, v3, v5
	v_add_co_ci_u32_e32 v1, vcc_lo, v4, v6, vcc_lo
	;; [unrolled: 2-line block ×3, first 2 shown]
	s_clause 0x1
	global_load_dword v9, v[0:1], off
	global_load_dword v10, v[5:6], off
	v_add_co_u32 v0, vcc_lo, v5, s16
	v_add_co_ci_u32_e32 v1, vcc_lo, s17, v6, vcc_lo
	v_add_co_u32 v5, vcc_lo, v0, s16
	v_add_co_ci_u32_e32 v6, vcc_lo, s17, v1, vcc_lo
	global_load_dword v11, v[0:1], off
	v_add_co_u32 v0, vcc_lo, v5, s16
	v_add_co_ci_u32_e32 v1, vcc_lo, s17, v6, vcc_lo
	v_add_co_u32 v58, vcc_lo, 0x800, v60
	v_add_co_ci_u32_e32 v59, vcc_lo, 0, v61, vcc_lo
	s_clause 0x1
	global_load_dword v12, v[5:6], off
	global_load_dword v13, v[0:1], off
	v_add_co_u32 v0, vcc_lo, v0, s16
	v_add_co_ci_u32_e32 v1, vcc_lo, s17, v1, vcc_lo
	v_add_co_u32 v56, vcc_lo, 0x1000, v60
	v_add_co_ci_u32_e32 v57, vcc_lo, 0, v61, vcc_lo
	s_clause 0x1
	global_load_dword v114, v[58:59], off offset:452
	global_load_dword v112, v[58:59], off offset:952
	global_load_dword v14, v[0:1], off
	v_add_co_u32 v0, vcc_lo, v0, s16
	v_add_co_ci_u32_e32 v1, vcc_lo, s17, v1, vcc_lo
	global_load_dword v111, v[58:59], off offset:1452
	v_add_co_u32 v5, vcc_lo, v0, s16
	v_add_co_ci_u32_e32 v6, vcc_lo, s17, v1, vcc_lo
	global_load_dword v15, v[0:1], off
	s_clause 0x1
	global_load_dword v110, v[58:59], off offset:1952
	global_load_dword v109, v[56:57], off offset:404
	v_add_co_u32 v0, vcc_lo, v5, s16
	v_add_co_ci_u32_e32 v1, vcc_lo, s17, v6, vcc_lo
	global_load_dword v16, v[5:6], off
	v_add_co_u32 v5, vcc_lo, v0, s16
	v_add_co_ci_u32_e32 v6, vcc_lo, s17, v1, vcc_lo
	global_load_dword v17, v[0:1], off
	;; [unrolled: 3-line block ×4, first 2 shown]
	s_clause 0x2
	global_load_dword v108, v[56:57], off offset:904
	global_load_dword v106, v95, s[6:7] offset:720
	global_load_dword v107, v95, s[6:7] offset:220
	global_load_dword v20, v[5:6], off
	v_add_co_u32 v0, vcc_lo, v5, s16
	v_add_co_ci_u32_e32 v1, vcc_lo, s17, v6, vcc_lo
	v_add_co_u32 v5, vcc_lo, v0, s16
	v_add_co_ci_u32_e32 v6, vcc_lo, s17, v1, vcc_lo
	global_load_dword v21, v[0:1], off
	global_load_dword v22, v[5:6], off
	v_add_co_u32 v0, vcc_lo, v5, s16
	v_add_co_ci_u32_e32 v1, vcc_lo, s17, v6, vcc_lo
	global_load_dword v100, v[58:59], off offset:1672
	v_add_co_u32 v5, vcc_lo, v0, s16
	v_add_co_ci_u32_e32 v6, vcc_lo, s17, v1, vcc_lo
	global_load_dword v23, v[0:1], off
	s_clause 0x2
	global_load_dword v101, v[58:59], off offset:1172
	global_load_dword v102, v[58:59], off offset:672
	;; [unrolled: 1-line block ×3, first 2 shown]
	global_load_dword v24, v[5:6], off
	v_add_co_u32 v0, vcc_lo, v5, s16
	v_add_co_ci_u32_e32 v1, vcc_lo, s17, v6, vcc_lo
	v_add_co_u32 v5, vcc_lo, v0, s16
	v_add_co_ci_u32_e32 v6, vcc_lo, s17, v1, vcc_lo
	global_load_dword v25, v[0:1], off
	s_clause 0x1
	global_load_dword v97, v[56:57], off offset:1124
	global_load_dword v98, v[56:57], off offset:624
	global_load_dword v26, v[5:6], off
	v_add_co_u32 v0, vcc_lo, v5, s16
	v_add_co_ci_u32_e32 v1, vcc_lo, s17, v6, vcc_lo
	global_load_dword v99, v[56:57], off offset:124
	v_add_co_u32 v5, vcc_lo, v0, s16
	v_add_co_ci_u32_e32 v6, vcc_lo, s17, v1, vcc_lo
	global_load_dword v27, v[0:1], off
	v_add_co_u32 v7, vcc_lo, v5, s16
	v_add_co_ci_u32_e32 v8, vcc_lo, s17, v6, vcc_lo
	global_load_dword v5, v[5:6], off
	;; [unrolled: 3-line block ×3, first 2 shown]
	global_load_dword v7, v[0:1], off
	s_load_dwordx4 s[8:11], s[2:3], 0x0
	v_cmp_gt_u16_e32 vcc_lo, 15, v2
	s_waitcnt vmcnt(36)
	v_lshrrev_b32_e32 v8, 16, v9
	v_mul_f16_sdwa v28, v119, v9 dst_sel:DWORD dst_unused:UNUSED_PAD src0_sel:WORD_1 src1_sel:DWORD
	s_waitcnt vmcnt(35)
	v_lshrrev_b32_e32 v30, 16, v10
	v_mul_f16_sdwa v31, v118, v10 dst_sel:DWORD dst_unused:UNUSED_PAD src0_sel:WORD_1 src1_sel:DWORD
	v_mul_f16_sdwa v29, v119, v8 dst_sel:DWORD dst_unused:UNUSED_PAD src0_sel:WORD_1 src1_sel:DWORD
	v_fma_f16 v8, v119, v8, -v28
	v_fmac_f16_e32 v29, v119, v9
	v_mul_f16_sdwa v9, v118, v30 dst_sel:DWORD dst_unused:UNUSED_PAD src0_sel:WORD_1 src1_sel:DWORD
	v_fma_f16 v30, v118, v30, -v31
	s_waitcnt vmcnt(34)
	v_lshrrev_b32_e32 v28, 16, v11
	v_mul_f16_sdwa v31, v116, v11 dst_sel:DWORD dst_unused:UNUSED_PAD src0_sel:WORD_1 src1_sel:DWORD
	v_pack_b32_f16 v8, v29, v8
	v_fmac_f16_e32 v9, v118, v10
	v_mul_f16_sdwa v10, v116, v28 dst_sel:DWORD dst_unused:UNUSED_PAD src0_sel:WORD_1 src1_sel:DWORD
	v_fma_f16 v28, v116, v28, -v31
	s_waitcnt vmcnt(33)
	v_lshrrev_b32_e32 v29, 16, v12
	v_mul_f16_sdwa v32, v117, v12 dst_sel:DWORD dst_unused:UNUSED_PAD src0_sel:WORD_1 src1_sel:DWORD
	v_pack_b32_f16 v9, v9, v30
	v_fmac_f16_e32 v10, v116, v11
	s_waitcnt vmcnt(32)
	v_lshrrev_b32_e32 v30, 16, v13
	v_mul_f16_sdwa v11, v117, v29 dst_sel:DWORD dst_unused:UNUSED_PAD src0_sel:WORD_1 src1_sel:DWORD
	v_mul_f16_sdwa v31, v113, v13 dst_sel:DWORD dst_unused:UNUSED_PAD src0_sel:WORD_1 src1_sel:DWORD
	v_fma_f16 v29, v117, v29, -v32
	ds_write_b32 v95, v9 offset:500
	v_pack_b32_f16 v9, v10, v28
	v_fmac_f16_e32 v11, v117, v12
	v_mul_f16_sdwa v10, v113, v30 dst_sel:DWORD dst_unused:UNUSED_PAD src0_sel:WORD_1 src1_sel:DWORD
	v_fma_f16 v12, v113, v30, -v31
	s_waitcnt vmcnt(29)
	v_lshrrev_b32_e32 v28, 16, v14
	v_mul_f16_sdwa v30, v114, v14 dst_sel:DWORD dst_unused:UNUSED_PAD src0_sel:WORD_1 src1_sel:DWORD
	ds_write_b32 v95, v9 offset:1000
	v_pack_b32_f16 v9, v11, v29
	v_fmac_f16_e32 v10, v113, v13
	v_mul_f16_sdwa v11, v114, v28 dst_sel:DWORD dst_unused:UNUSED_PAD src0_sel:WORD_1 src1_sel:DWORD
	v_fma_f16 v13, v114, v28, -v30
	s_waitcnt vmcnt(27)
	v_lshrrev_b32_e32 v28, 16, v15
	v_mul_f16_sdwa v29, v112, v15 dst_sel:DWORD dst_unused:UNUSED_PAD src0_sel:WORD_1 src1_sel:DWORD
	;; [unrolled: 8-line block ×5, first 2 shown]
	ds_write_b32 v95, v9 offset:3000
	v_pack_b32_f16 v9, v11, v13
	v_fmac_f16_e32 v10, v110, v17
	v_mul_f16_sdwa v11, v109, v14 dst_sel:DWORD dst_unused:UNUSED_PAD src0_sel:WORD_1 src1_sel:DWORD
	v_fma_f16 v13, v109, v14, -v15
	s_waitcnt vmcnt(21)
	v_lshrrev_b32_e32 v14, 16, v19
	s_waitcnt vmcnt(20)
	v_mul_f16_sdwa v15, v108, v19 dst_sel:DWORD dst_unused:UNUSED_PAD src0_sel:WORD_1 src1_sel:DWORD
	ds_write_b32 v95, v9 offset:3500
	v_pack_b32_f16 v9, v10, v12
	v_fmac_f16_e32 v11, v109, v18
	v_mul_f16_sdwa v10, v108, v14 dst_sel:DWORD dst_unused:UNUSED_PAD src0_sel:WORD_1 src1_sel:DWORD
	v_fma_f16 v12, v108, v14, -v15
	s_waitcnt vmcnt(17)
	v_lshrrev_b32_e32 v14, 16, v20
	v_mul_f16_sdwa v15, v107, v20 dst_sel:DWORD dst_unused:UNUSED_PAD src0_sel:WORD_1 src1_sel:DWORD
	ds_write_b32 v95, v9 offset:4000
	v_pack_b32_f16 v9, v11, v13
	v_fmac_f16_e32 v10, v108, v19
	v_mul_f16_sdwa v11, v107, v14 dst_sel:DWORD dst_unused:UNUSED_PAD src0_sel:WORD_1 src1_sel:DWORD
	v_fma_f16 v13, v107, v14, -v15
	s_waitcnt vmcnt(16)
	v_lshrrev_b32_e32 v14, 16, v21
	;; [unrolled: 8-line block ×4, first 2 shown]
	v_mul_f16_sdwa v15, v104, v23 dst_sel:DWORD dst_unused:UNUSED_PAD src0_sel:WORD_1 src1_sel:DWORD
	ds_write2_b32 v95, v8, v9 offset1:55
	v_pack_b32_f16 v8, v10, v12
	v_fmac_f16_e32 v11, v105, v22
	v_mul_f16_sdwa v9, v104, v14 dst_sel:DWORD dst_unused:UNUSED_PAD src0_sel:WORD_1 src1_sel:DWORD
	v_fma_f16 v10, v104, v14, -v15
	s_waitcnt vmcnt(9)
	v_lshrrev_b32_e32 v12, 16, v24
	v_mul_f16_sdwa v14, v103, v24 dst_sel:DWORD dst_unused:UNUSED_PAD src0_sel:WORD_1 src1_sel:DWORD
	ds_write_b32 v95, v8 offset:720
	v_pack_b32_f16 v8, v11, v13
	v_fmac_f16_e32 v9, v104, v23
	v_mul_f16_sdwa v11, v103, v12 dst_sel:DWORD dst_unused:UNUSED_PAD src0_sel:WORD_1 src1_sel:DWORD
	v_fma_f16 v12, v103, v12, -v14
	s_waitcnt vmcnt(8)
	v_lshrrev_b32_e32 v13, 16, v25
	v_mul_f16_sdwa v14, v102, v25 dst_sel:DWORD dst_unused:UNUSED_PAD src0_sel:WORD_1 src1_sel:DWORD
	ds_write_b32 v95, v8 offset:1220
	v_pack_b32_f16 v8, v9, v10
	v_fmac_f16_e32 v11, v103, v24
	v_mul_f16_sdwa v9, v102, v13 dst_sel:DWORD dst_unused:UNUSED_PAD src0_sel:WORD_1 src1_sel:DWORD
	v_fma_f16 v10, v102, v13, -v14
	s_waitcnt vmcnt(5)
	v_lshrrev_b32_e32 v13, 16, v26
	v_mul_f16_sdwa v14, v101, v26 dst_sel:DWORD dst_unused:UNUSED_PAD src0_sel:WORD_1 src1_sel:DWORD
	ds_write_b32 v95, v8 offset:1720
	v_pack_b32_f16 v8, v11, v12
	v_fmac_f16_e32 v9, v102, v25
	v_mul_f16_sdwa v11, v101, v13 dst_sel:DWORD dst_unused:UNUSED_PAD src0_sel:WORD_1 src1_sel:DWORD
	v_fma_f16 v12, v101, v13, -v14
	s_waitcnt vmcnt(3)
	v_lshrrev_b32_e32 v13, 16, v27
	v_mul_f16_sdwa v14, v100, v27 dst_sel:DWORD dst_unused:UNUSED_PAD src0_sel:WORD_1 src1_sel:DWORD
	ds_write_b32 v95, v8 offset:2220
	v_pack_b32_f16 v8, v9, v10
	v_fmac_f16_e32 v11, v101, v26
	v_mul_f16_sdwa v9, v100, v13 dst_sel:DWORD dst_unused:UNUSED_PAD src0_sel:WORD_1 src1_sel:DWORD
	v_fma_f16 v10, v100, v13, -v14
	s_waitcnt vmcnt(2)
	v_lshrrev_b32_e32 v13, 16, v5
	v_mul_f16_sdwa v14, v99, v5 dst_sel:DWORD dst_unused:UNUSED_PAD src0_sel:WORD_1 src1_sel:DWORD
	ds_write_b32 v95, v8 offset:2720
	v_pack_b32_f16 v8, v11, v12
	s_waitcnt vmcnt(1)
	v_lshrrev_b32_e32 v11, 16, v6
	s_waitcnt vmcnt(0)
	v_lshrrev_b32_e32 v15, 16, v7
	v_mul_f16_sdwa v12, v99, v13 dst_sel:DWORD dst_unused:UNUSED_PAD src0_sel:WORD_1 src1_sel:DWORD
	v_fma_f16 v13, v99, v13, -v14
	v_mul_f16_sdwa v14, v98, v6 dst_sel:DWORD dst_unused:UNUSED_PAD src0_sel:WORD_1 src1_sel:DWORD
	v_mul_f16_sdwa v16, v98, v11 dst_sel:DWORD dst_unused:UNUSED_PAD src0_sel:WORD_1 src1_sel:DWORD
	;; [unrolled: 1-line block ×4, first 2 shown]
	v_fmac_f16_e32 v9, v100, v27
	v_fmac_f16_e32 v12, v99, v5
	v_fma_f16 v5, v98, v11, -v14
	v_fmac_f16_e32 v16, v98, v6
	v_fma_f16 v6, v97, v15, -v17
	v_fmac_f16_e32 v18, v97, v7
	v_pack_b32_f16 v7, v9, v10
	ds_write_b32 v95, v8 offset:3220
	v_pack_b32_f16 v8, v12, v13
	v_pack_b32_f16 v5, v16, v5
	;; [unrolled: 1-line block ×3, first 2 shown]
	ds_write_b32 v95, v7 offset:3720
	ds_write_b32 v95, v8 offset:4220
	;; [unrolled: 1-line block ×4, first 2 shown]
	s_and_saveexec_b32 s2, vcc_lo
	s_cbranch_execz .LBB0_3
; %bb.2:
	v_add_co_u32 v0, s0, v0, s0
	v_add_co_ci_u32_e64 v1, s0, s1, v1, s0
	v_mad_u64_u32 v[9:10], null, s12, v96, 0
	v_add_co_u32 v5, s0, v0, s16
	v_add_co_ci_u32_e64 v6, s0, s17, v1, s0
	global_load_dword v11, v[0:1], off
	v_add_co_u32 v7, s0, v5, s16
	v_add_co_ci_u32_e64 v8, s0, s17, v6, s0
	v_mov_b32_e32 v2, v10
	v_add_co_u32 v0, s0, v7, s16
	v_add_co_ci_u32_e64 v1, s0, s17, v8, s0
	global_load_dword v12, v[5:6], off
	global_load_dword v8, v[7:8], off
	;; [unrolled: 1-line block ×3, first 2 shown]
	s_clause 0x3
	global_load_dword v14, v[60:61], off offset:440
	global_load_dword v15, v[60:61], off offset:940
	global_load_dword v16, v[60:61], off offset:1440
	global_load_dword v17, v[60:61], off offset:1940
	v_add_co_u32 v0, s0, v0, s16
	v_mad_u64_u32 v[5:6], null, s13, v96, v[2:3]
	v_add_co_ci_u32_e64 v1, s0, s17, v1, s0
	v_add_co_u32 v6, s0, v0, s16
	v_add_nc_u32_e32 v24, 0x800, v95
	v_add_co_ci_u32_e64 v7, s0, s17, v1, s0
	v_mov_b32_e32 v10, v5
	global_load_dword v18, v[0:1], off
	v_add_co_u32 v0, s0, v6, s16
	v_add_co_ci_u32_e64 v1, s0, s17, v7, s0
	global_load_dword v7, v[6:7], off
	s_clause 0x1
	global_load_dword v19, v[58:59], off offset:392
	global_load_dword v20, v[58:59], off offset:892
	global_load_dword v21, v[0:1], off
	v_lshlrev_b64 v[5:6], 2, v[9:10]
	v_add_co_u32 v0, s0, v0, s16
	v_add_co_ci_u32_e64 v1, s0, s17, v1, s0
	v_add_nc_u32_e32 v25, 0xc00, v95
	v_add_co_u32 v2, s0, v3, v5
	v_add_co_ci_u32_e64 v3, s0, v4, v6, s0
	v_lshlrev_b32_e32 v4, 2, v96
	s_clause 0x3
	global_load_dword v5, v[58:59], off offset:1392
	global_load_dword v6, v[58:59], off offset:1892
	;; [unrolled: 1-line block ×4, first 2 shown]
	global_load_dword v22, v[2:3], off
	global_load_dword v4, v4, s[6:7]
	v_add_co_u32 v2, s0, v0, s16
	v_add_co_ci_u32_e64 v3, s0, s17, v1, s0
	global_load_dword v23, v[0:1], off
	v_add_co_u32 v0, s0, v2, s16
	v_add_co_ci_u32_e64 v1, s0, s17, v3, s0
	global_load_dword v2, v[2:3], off
	global_load_dword v0, v[0:1], off
	v_add_nc_u32_e32 v3, 0x400, v95
	v_add_nc_u32_e32 v29, 0x1000, v95
	s_waitcnt vmcnt(21)
	v_lshrrev_b32_e32 v1, 16, v11
	s_waitcnt vmcnt(20)
	v_lshrrev_b32_e32 v28, 16, v12
	s_waitcnt vmcnt(17)
	v_mul_f16_sdwa v26, v14, v11 dst_sel:DWORD dst_unused:UNUSED_PAD src0_sel:WORD_1 src1_sel:DWORD
	v_mul_f16_sdwa v27, v14, v1 dst_sel:DWORD dst_unused:UNUSED_PAD src0_sel:WORD_1 src1_sel:DWORD
	s_waitcnt vmcnt(16)
	v_mul_f16_sdwa v30, v15, v12 dst_sel:DWORD dst_unused:UNUSED_PAD src0_sel:WORD_1 src1_sel:DWORD
	v_fma_f16 v1, v14, v1, -v26
	v_fmac_f16_e32 v27, v14, v11
	v_mul_f16_sdwa v11, v15, v28 dst_sel:DWORD dst_unused:UNUSED_PAD src0_sel:WORD_1 src1_sel:DWORD
	v_lshrrev_b32_e32 v14, 16, v8
	v_fma_f16 v26, v15, v28, -v30
	s_waitcnt vmcnt(15)
	v_mul_f16_sdwa v28, v16, v8 dst_sel:DWORD dst_unused:UNUSED_PAD src0_sel:WORD_1 src1_sel:DWORD
	v_pack_b32_f16 v1, v27, v1
	v_fmac_f16_e32 v11, v15, v12
	v_mul_f16_sdwa v12, v16, v14 dst_sel:DWORD dst_unused:UNUSED_PAD src0_sel:WORD_1 src1_sel:DWORD
	v_lshrrev_b32_e32 v15, 16, v13
	s_waitcnt vmcnt(14)
	v_mul_f16_sdwa v27, v17, v13 dst_sel:DWORD dst_unused:UNUSED_PAD src0_sel:WORD_1 src1_sel:DWORD
	v_fma_f16 v14, v16, v14, -v28
	v_pack_b32_f16 v11, v11, v26
	v_fmac_f16_e32 v12, v16, v8
	v_mul_f16_sdwa v8, v17, v15 dst_sel:DWORD dst_unused:UNUSED_PAD src0_sel:WORD_1 src1_sel:DWORD
	s_waitcnt vmcnt(13)
	v_lshrrev_b32_e32 v16, 16, v18
	v_fma_f16 v15, v17, v15, -v27
	ds_write2_b32 v95, v1, v11 offset0:110 offset1:235
	v_pack_b32_f16 v1, v12, v14
	v_fmac_f16_e32 v8, v17, v13
	s_waitcnt vmcnt(12)
	v_lshrrev_b32_e32 v12, 16, v7
	s_waitcnt vmcnt(10)
	v_mul_f16_sdwa v13, v20, v7 dst_sel:DWORD dst_unused:UNUSED_PAD src0_sel:WORD_1 src1_sel:DWORD
	v_mul_f16_sdwa v26, v19, v18 dst_sel:DWORD dst_unused:UNUSED_PAD src0_sel:WORD_1 src1_sel:DWORD
	v_mul_f16_sdwa v11, v19, v16 dst_sel:DWORD dst_unused:UNUSED_PAD src0_sel:WORD_1 src1_sel:DWORD
	v_pack_b32_f16 v8, v8, v15
	v_mul_f16_sdwa v15, v20, v12 dst_sel:DWORD dst_unused:UNUSED_PAD src0_sel:WORD_1 src1_sel:DWORD
	v_fma_f16 v12, v20, v12, -v13
	s_waitcnt vmcnt(9)
	v_lshrrev_b32_e32 v13, 16, v21
	v_fma_f16 v14, v19, v16, -v26
	v_fmac_f16_e32 v11, v19, v18
	s_waitcnt vmcnt(8)
	v_mul_f16_sdwa v16, v5, v21 dst_sel:DWORD dst_unused:UNUSED_PAD src0_sel:WORD_1 src1_sel:DWORD
	s_waitcnt vmcnt(4)
	v_lshrrev_b32_e32 v17, 16, v22
	s_waitcnt vmcnt(3)
	v_mul_f16_sdwa v18, v4, v22 dst_sel:DWORD dst_unused:UNUSED_PAD src0_sel:WORD_1 src1_sel:DWORD
	v_fmac_f16_e32 v15, v20, v7
	v_mul_f16_sdwa v7, v5, v13 dst_sel:DWORD dst_unused:UNUSED_PAD src0_sel:WORD_1 src1_sel:DWORD
	v_pack_b32_f16 v11, v11, v14
	s_waitcnt vmcnt(2)
	v_lshrrev_b32_e32 v14, 16, v23
	v_fma_f16 v13, v5, v13, -v16
	v_mul_f16_sdwa v16, v6, v23 dst_sel:DWORD dst_unused:UNUSED_PAD src0_sel:WORD_1 src1_sel:DWORD
	v_mul_f16_sdwa v19, v4, v17 dst_sel:DWORD dst_unused:UNUSED_PAD src0_sel:WORD_1 src1_sel:DWORD
	v_fma_f16 v17, v4, v17, -v18
	v_fmac_f16_e32 v7, v5, v21
	s_waitcnt vmcnt(1)
	v_lshrrev_b32_e32 v5, 16, v2
	s_waitcnt vmcnt(0)
	v_lshrrev_b32_e32 v18, 16, v0
	v_pack_b32_f16 v12, v15, v12
	v_mul_f16_sdwa v15, v6, v14 dst_sel:DWORD dst_unused:UNUSED_PAD src0_sel:WORD_1 src1_sel:DWORD
	v_fma_f16 v14, v6, v14, -v16
	v_mul_f16_sdwa v16, v9, v2 dst_sel:DWORD dst_unused:UNUSED_PAD src0_sel:WORD_1 src1_sel:DWORD
	v_mul_f16_sdwa v20, v9, v5 dst_sel:DWORD dst_unused:UNUSED_PAD src0_sel:WORD_1 src1_sel:DWORD
	;; [unrolled: 1-line block ×4, first 2 shown]
	v_fmac_f16_e32 v15, v6, v23
	v_fma_f16 v5, v9, v5, -v16
	v_fmac_f16_e32 v20, v9, v2
	v_fma_f16 v2, v10, v18, -v21
	v_fmac_f16_e32 v26, v10, v0
	v_fmac_f16_e32 v19, v4, v22
	v_pack_b32_f16 v0, v7, v13
	v_pack_b32_f16 v4, v15, v14
	;; [unrolled: 1-line block ×5, first 2 shown]
	ds_write2_b32 v3, v1, v8 offset0:104 offset1:229
	ds_write2_b32 v24, v11, v12 offset0:98 offset1:223
	;; [unrolled: 1-line block ×4, first 2 shown]
	ds_write_b32 v95, v6 offset:5440
.LBB0_3:
	s_or_b32 exec_lo, exec_lo, s2
	v_add_nc_u32_e32 v0, 0x200, v95
	v_add_nc_u32_e32 v3, 0x400, v95
	;; [unrolled: 1-line block ×4, first 2 shown]
	s_waitcnt lgkmcnt(0)
	s_barrier
	buffer_gl0_inv
	ds_read2_b32 v[10:11], v95 offset1:55
	ds_read2_b32 v[30:31], v95 offset0:125 offset1:180
	ds_read2_b32 v[24:25], v0 offset0:122 offset1:177
	;; [unrolled: 1-line block ×5, first 2 shown]
	v_add_nc_u32_e32 v0, 0xa00, v95
	v_add_nc_u32_e32 v33, 0xc00, v95
	;; [unrolled: 1-line block ×5, first 2 shown]
	ds_read2_b32 v[14:15], v0 offset0:110 offset1:165
	ds_read2_b32 v[18:19], v33 offset0:107 offset1:162
	;; [unrolled: 1-line block ×5, first 2 shown]
	s_load_dwordx2 s[0:1], s[4:5], 0x8
	v_mov_b32_e32 v0, 0
                                        ; implicit-def: $vgpr4
                                        ; implicit-def: $vgpr7
                                        ; implicit-def: $vgpr2
                                        ; implicit-def: $vgpr9
                                        ; implicit-def: $vgpr32
	s_and_saveexec_b32 s2, vcc_lo
	s_cbranch_execz .LBB0_5
; %bb.4:
	ds_read2_b32 v[0:1], v95 offset0:110 offset1:235
	ds_read2_b32 v[8:9], v3 offset0:104 offset1:229
	;; [unrolled: 1-line block ×5, first 2 shown]
	ds_read_b32 v32, v95 offset:5440
.LBB0_5:
	s_or_b32 exec_lo, exec_lo, s2
	s_waitcnt lgkmcnt(0)
	v_pk_add_f16 v51, v1, v32 neg_lo:[0,1] neg_hi:[0,1]
	v_mov_b32_e32 v52, 0xbbeb
	v_pk_add_f16 v34, v32, v1
	v_mov_b32_e32 v66, 0xbb47
	v_pk_add_f16 v54, v8, v3 neg_lo:[0,1] neg_hi:[0,1]
	v_mov_b32_e32 v70, 0x3482
	v_mul_f16_sdwa v39, v51, v52 dst_sel:DWORD dst_unused:UNUSED_PAD src0_sel:WORD_1 src1_sel:DWORD
	v_mov_b32_e32 v48, 0xba0c
	v_mul_f16_sdwa v36, v51, v66 dst_sel:DWORD dst_unused:UNUSED_PAD src0_sel:WORD_1 src1_sel:DWORD
	v_pk_add_f16 v38, v3, v8
	v_mul_f16_sdwa v42, v54, v70 dst_sel:DWORD dst_unused:UNUSED_PAD src0_sel:WORD_1 src1_sel:DWORD
	v_fma_f16 v68, v34, 0xb08e, -v39
	v_fmac_f16_e32 v39, 0xb08e, v34
	v_pk_add_f16 v53, v9, v2 neg_lo:[0,1] neg_hi:[0,1]
	v_mov_b32_e32 v44, 0x3b47
	v_mul_f16_sdwa v33, v54, v48 dst_sel:DWORD dst_unused:UNUSED_PAD src0_sel:WORD_1 src1_sel:DWORD
	v_fmamk_f16 v43, v34, 0x36a6, v36
	v_fma_f16 v67, v38, 0xbbad, -v42
	v_pk_add_f16 v40, v2, v9
	v_mul_f16_sdwa v63, v53, v44 dst_sel:DWORD dst_unused:UNUSED_PAD src0_sel:WORD_1 src1_sel:DWORD
	v_fmac_f16_e32 v42, 0xbbad, v38
	v_add_f16_e32 v74, v39, v0
	v_fmamk_f16 v46, v38, 0xb93d, v33
	v_mov_b32_e32 v69, 0x3beb
	v_pk_add_f16 v50, v6, v5 neg_lo:[0,1] neg_hi:[0,1]
	v_mul_f16_sdwa v37, v53, v70 dst_sel:DWORD dst_unused:UNUSED_PAD src0_sel:WORD_1 src1_sel:DWORD
	v_fma_f16 v55, v40, 0x36a6, -v63
	v_fmac_f16_e32 v63, 0x36a6, v40
	v_add_f16_e32 v43, v43, v0
	v_add_f16_e32 v42, v42, v74
	v_pk_add_f16 v76, v26, v30
	v_mov_b32_e32 v49, 0xb853
	v_pk_add_f16 v41, v5, v6
	v_mul_f16_sdwa v35, v50, v69 dst_sel:DWORD dst_unused:UNUSED_PAD src0_sel:WORD_1 src1_sel:DWORD
	v_fmamk_f16 v64, v40, 0xbbad, v37
	v_add_f16_e32 v43, v46, v43
	v_pk_add_f16 v75, v30, v26 neg_lo:[0,1] neg_hi:[0,1]
	v_add_f16_e32 v42, v63, v42
	v_pk_mul_f16 v63, 0x3abb36a6, v76
	v_fmamk_f16 v71, v41, 0xb08e, v35
	v_add_f16_e32 v43, v64, v43
	v_mul_f16_sdwa v77, v75, v49 dst_sel:DWORD dst_unused:UNUSED_PAD src0_sel:WORD_1 src1_sel:DWORD
	v_pk_add_f16 v78, v24, v28 neg_lo:[0,1] neg_hi:[0,1]
	v_pk_add_f16 v79, v28, v24
	v_pk_fma_f16 v80, 0xbb47b853, v75, v63 op_sel:[0,0,1] op_sel_hi:[1,1,0] neg_lo:[0,1,0] neg_hi:[0,1,0]
	v_pk_fma_f16 v81, 0xbb47b853, v75, v63 op_sel:[0,0,1] op_sel_hi:[1,1,0]
	v_add_f16_e32 v43, v71, v43
	v_fma_f16 v64, v76, 0x3abb, -v77
	v_mul_f16_sdwa v82, v78, v66 dst_sel:DWORD dst_unused:UNUSED_PAD src0_sel:WORD_1 src1_sel:DWORD
	v_pk_mul_f16 v63, 0x36a6b93d, v79
	v_bfi_b32 v71, 0xffff, v81, v80
	v_lshrrev_b32_e32 v85, 16, v76
	v_mul_f16_e32 v86, 0xbb47, v75
	v_add_f16_e32 v64, v10, v64
	v_fma_f16 v83, v79, 0x36a6, -v82
	v_pk_fma_f16 v84, 0xba0cbb47, v78, v63 op_sel:[0,0,1] op_sel_hi:[1,1,0] neg_lo:[0,1,0] neg_hi:[0,1,0]
	v_pk_fma_f16 v87, 0xba0cbb47, v78, v63 op_sel:[0,0,1] op_sel_hi:[1,1,0]
	v_pk_add_f16 v63, v10, v71 op_sel:[1,0] op_sel_hi:[0,1]
	v_fmamk_f16 v71, v85, 0x36a6, v86
	v_lshrrev_b32_e32 v88, 16, v79
	v_mul_f16_e32 v89, 0xba0c, v78
	v_add_f16_e32 v64, v83, v64
	v_pk_add_f16 v83, v22, v20
	v_pk_add_f16 v90, v20, v22 neg_lo:[0,1] neg_hi:[0,1]
	v_add_f16_sdwa v71, v10, v71 dst_sel:DWORD dst_unused:UNUSED_PAD src0_sel:WORD_1 src1_sel:DWORD
	v_fmamk_f16 v93, v88, 0xb93d, v89
	v_bfi_b32 v92, 0xffff, v87, v84
	v_pk_mul_f16 v91, 0xb08ebbad, v83
	v_mul_f16_sdwa v94, v90, v52 dst_sel:DWORD dst_unused:UNUSED_PAD src0_sel:WORD_1 src1_sel:DWORD
	v_lshrrev_b32_e32 v122, 16, v83
	v_add_f16_e32 v71, v93, v71
	v_pk_add_f16 v93, v18, v16
	v_pk_fma_f16 v121, 0x3482bbeb, v90, v91 op_sel:[0,0,1] op_sel_hi:[1,1,0] neg_lo:[0,1,0] neg_hi:[0,1,0]
	v_pk_fma_f16 v91, 0x3482bbeb, v90, v91 op_sel:[0,0,1] op_sel_hi:[1,1,0]
	v_pk_add_f16 v63, v92, v63
	v_fma_f16 v92, v83, 0xb08e, -v94
	v_mul_f16_e32 v123, 0x3482, v90
	v_pk_add_f16 v124, v16, v18 neg_lo:[0,1] neg_hi:[0,1]
	v_pk_mul_f16 v125, 0xb93db08e, v93
	v_pk_add_f16 v128, v14, v12
	v_bfi_b32 v120, 0xffff, v91, v121
	v_add_f16_e32 v64, v92, v64
	v_fmamk_f16 v92, v122, 0xbbad, v123
	v_pk_fma_f16 v127, 0x3bebba0c, v124, v125 op_sel:[0,0,1] op_sel_hi:[1,1,0] neg_lo:[0,1,0] neg_hi:[0,1,0]
	v_pk_fma_f16 v125, 0x3bebba0c, v124, v125 op_sel:[0,0,1] op_sel_hi:[1,1,0]
	v_lshrrev_b32_e32 v129, 16, v93
	v_mul_f16_e32 v130, 0x3beb, v124
	v_pk_add_f16 v131, v12, v14 neg_lo:[0,1] neg_hi:[0,1]
	v_pk_mul_f16 v132, 0xbbad3abb, v128
	v_mul_f16_sdwa v72, v50, v49 dst_sel:DWORD dst_unused:UNUSED_PAD src0_sel:WORD_1 src1_sel:DWORD
	v_pk_add_f16 v47, v7, v4 neg_lo:[0,1] neg_hi:[0,1]
	v_mov_b32_e32 v73, 0x3853
	v_pk_add_f16 v63, v120, v63
	v_mul_f16_sdwa v126, v124, v48 dst_sel:DWORD dst_unused:UNUSED_PAD src0_sel:WORD_1 src1_sel:DWORD
	v_add_f16_e32 v92, v92, v71
	v_bfi_b32 v133, 0xffff, v125, v127
	v_fmamk_f16 v134, v129, 0xb08e, v130
	v_pk_fma_f16 v135, 0x3853b482, v131, v132 op_sel:[0,0,1] op_sel_hi:[1,1,0] neg_lo:[0,1,0] neg_hi:[0,1,0]
	v_mov_b32_e32 v71, 0xb482
	v_pk_fma_f16 v136, 0x3853b482, v131, v132 op_sel:[0,0,1] op_sel_hi:[1,1,0]
	v_lshrrev_b32_e32 v137, 16, v128
	v_mul_f16_e32 v138, 0x3853, v131
	v_fma_f16 v65, v41, 0x3abb, -v72
	v_pk_add_f16 v45, v4, v7
	v_mul_f16_sdwa v39, v47, v73 dst_sel:DWORD dst_unused:UNUSED_PAD src0_sel:WORD_1 src1_sel:DWORD
	v_mul_f16_sdwa v73, v47, v48 dst_sel:DWORD dst_unused:UNUSED_PAD src0_sel:WORD_1 src1_sel:DWORD
	v_fmac_f16_e32 v72, 0x3abb, v41
	v_fma_f16 v120, v93, 0xb93d, -v126
	v_pk_add_f16 v63, v133, v63
	v_mul_f16_sdwa v133, v131, v71 dst_sel:DWORD dst_unused:UNUSED_PAD src0_sel:WORD_1 src1_sel:DWORD
	v_add_f16_e32 v92, v134, v92
	v_bfi_b32 v134, 0xffff, v136, v135
	v_fmamk_f16 v136, v137, 0x3abb, v138
	v_fmamk_f16 v74, v45, 0x3abb, v39
	v_fma_f16 v46, v45, 0xb93d, -v73
	v_fmac_f16_e32 v73, 0xb93d, v45
	v_add_f16_e32 v120, v120, v64
	v_fma_f16 v139, v128, 0xbbad, -v133
	v_add_f16_e32 v42, v72, v42
	v_pk_add_f16 v72, v134, v63
	v_add_f16_e32 v92, v136, v92
	v_add_f16_e32 v64, v74, v43
	;; [unrolled: 1-line block ×4, first 2 shown]
	v_mul_f16_sdwa v73, v75, v52 dst_sel:DWORD dst_unused:UNUSED_PAD src0_sel:WORD_1 src1_sel:DWORD
	v_alignbit_b32 v74, v92, v72, 16
	v_mul_f16_e32 v92, 0xbbeb, v75
	v_pack_b32_f16 v43, v43, v72
	v_mul_lo_u16 v72, v115, 11
	v_fma_f16 v120, v76, 0xb08e, -v73
	v_mul_f16_sdwa v134, v78, v70 dst_sel:DWORD dst_unused:UNUSED_PAD src0_sel:WORD_1 src1_sel:DWORD
	v_fmamk_f16 v136, v85, 0xb08e, v92
	v_mov_b32_e32 v42, 2
	v_mul_f16_e32 v139, 0x3482, v78
	v_add_f16_e32 v140, v10, v120
	v_fma_f16 v141, v79, 0xbbad, -v134
	v_add_f16_sdwa v136, v10, v136 dst_sel:DWORD dst_unused:UNUSED_PAD src0_sel:WORD_1 src1_sel:DWORD
	v_mul_f16_sdwa v142, v75, v48 dst_sel:DWORD dst_unused:UNUSED_PAD src0_sel:WORD_1 src1_sel:DWORD
	v_fmamk_f16 v143, v88, 0xbbad, v139
	v_lshlrev_b32_sdwa v120, v42, v72 dst_sel:DWORD dst_unused:UNUSED_PAD src0_sel:DWORD src1_sel:WORD_0
	v_mul_f16_e32 v72, 0xba0c, v75
	v_add_f16_e32 v140, v141, v140
	v_fma_f16 v141, v76, 0xb93d, -v142
	v_add_f16_e32 v136, v143, v136
	v_mul_f16_sdwa v143, v78, v69 dst_sel:DWORD dst_unused:UNUSED_PAD src0_sel:WORD_1 src1_sel:DWORD
	v_fmamk_f16 v144, v85, 0xb93d, v72
	v_mul_f16_e32 v145, 0x3beb, v78
	v_mul_f16_sdwa v146, v90, v44 dst_sel:DWORD dst_unused:UNUSED_PAD src0_sel:WORD_1 src1_sel:DWORD
	v_add_f16_e32 v141, v10, v141
	v_fma_f16 v147, v79, 0xb08e, -v143
	v_add_f16_sdwa v144, v10, v144 dst_sel:DWORD dst_unused:UNUSED_PAD src0_sel:WORD_1 src1_sel:DWORD
	v_fmamk_f16 v148, v88, 0xb08e, v145
	v_fma_f16 v150, v83, 0x36a6, -v146
	v_mul_f16_sdwa v151, v90, v49 dst_sel:DWORD dst_unused:UNUSED_PAD src0_sel:WORD_1 src1_sel:DWORD
	v_add_f16_e32 v141, v147, v141
	v_mul_f16_sdwa v154, v124, v71 dst_sel:DWORD dst_unused:UNUSED_PAD src0_sel:WORD_1 src1_sel:DWORD
	v_add_f16_e32 v144, v148, v144
	v_add_f16_e32 v140, v150, v140
	v_fma_f16 v148, v83, 0x3abb, -v151
	v_mul_f16_e32 v150, 0xb853, v90
	v_mul_f16_e32 v149, 0x3b47, v90
	v_mul_f16_sdwa v157, v131, v44 dst_sel:DWORD dst_unused:UNUSED_PAD src0_sel:WORD_1 src1_sel:DWORD
	v_pk_mul_f16 v161, 0x3abb, v79 op_sel_hi:[0,1]
	v_add_f16_e32 v141, v148, v141
	v_fmamk_f16 v148, v122, 0x3abb, v150
	v_fmamk_f16 v147, v122, 0x36a6, v149
	v_fma_f16 v158, v128, 0x36a6, -v157
	v_mul_f16_sdwa v152, v124, v49 dst_sel:DWORD dst_unused:UNUSED_PAD src0_sel:WORD_1 src1_sel:DWORD
	v_pk_fma_f16 v162, 0x3853, v78, v161 op_sel:[0,0,1] op_sel_hi:[0,1,0] neg_lo:[0,1,0] neg_hi:[0,1,0]
	v_add_f16_e32 v144, v148, v144
	v_fma_f16 v148, v93, 0xbbad, -v154
	v_add_f16_e32 v136, v147, v136
	v_mul_f16_e32 v147, 0xb853, v124
	v_pk_mul_f16 v163, 0xb93d, v83 op_sel_hi:[0,1]
	v_pk_fma_f16 v78, 0x3853, v78, v161 op_sel:[0,0,1] op_sel_hi:[0,1,0]
	v_add_f16_e32 v141, v148, v141
	v_pk_mul_f16 v148, 0xbbad, v76 op_sel_hi:[0,1]
	v_fma_f16 v153, v93, 0x3abb, -v152
	v_fmamk_f16 v155, v129, 0x3abb, v147
	v_mul_f16_e32 v156, 0xb482, v124
	v_add_f16_e32 v141, v158, v141
	v_pk_fma_f16 v160, 0xb482, v75, v148 op_sel:[0,0,1] op_sel_hi:[0,1,0] neg_lo:[0,1,0] neg_hi:[0,1,0]
	v_pk_fma_f16 v75, 0xb482, v75, v148 op_sel:[0,0,1] op_sel_hi:[0,1,0]
	v_alignbit_b32 v148, s0, v10, 16
	v_alignbit_b32 v164, s0, v162, 16
	v_pk_fma_f16 v161, 0xba0c, v90, v163 op_sel:[0,0,1] op_sel_hi:[0,1,0] neg_lo:[0,1,0] neg_hi:[0,1,0]
	v_alignbit_b32 v158, s0, v160, 16
	v_pk_add_f16 v75, v10, v75 op_sel:[1,0] op_sel_hi:[0,1]
	v_pk_add_f16 v148, v148, v160
	v_pk_mul_f16 v160, 0x36a6, v93 op_sel_hi:[0,1]
	v_pk_fma_f16 v90, 0xba0c, v90, v163 op_sel:[0,0,1] op_sel_hi:[0,1,0]
	v_pk_add_f16 v158, v10, v158
	v_pk_add_f16 v75, v78, v75
	v_add_f16_e32 v140, v153, v140
	v_add_f16_e32 v136, v155, v136
	v_fmamk_f16 v153, v129, 0xbbad, v156
	v_mul_f16_sdwa v155, v131, v48 dst_sel:DWORD dst_unused:UNUSED_PAD src0_sel:WORD_1 src1_sel:DWORD
	v_pk_add_f16 v158, v164, v158
	v_alignbit_b32 v78, s0, v161, 16
	v_pk_fma_f16 v164, 0x3b47, v124, v160 op_sel:[0,0,1] op_sel_hi:[0,1,0] neg_lo:[0,1,0] neg_hi:[0,1,0]
	v_pk_add_f16 v148, v162, v148
	v_pk_add_f16 v75, v90, v75
	v_pk_mul_f16 v90, 0xb08e, v128 op_sel_hi:[0,1]
	v_add_f16_e32 v144, v153, v144
	v_fma_f16 v153, v128, 0xb93d, -v155
	v_mul_f16_e32 v159, 0x3b47, v131
	v_mul_f16_e32 v163, 0xb93d, v137
	v_pk_add_f16 v78, v78, v158
	v_alignbit_b32 v158, s0, v164, 16
	v_pk_fma_f16 v124, 0x3b47, v124, v160 op_sel:[0,0,1] op_sel_hi:[0,1,0]
	v_pk_add_f16 v148, v161, v148
	v_pk_fma_f16 v161, 0xbbeb, v131, v90 op_sel:[0,0,1] op_sel_hi:[0,1,0] neg_lo:[0,1,0] neg_hi:[0,1,0]
	v_add_f16_e32 v140, v153, v140
	v_fmamk_f16 v153, v137, 0x36a6, v159
	v_fmamk_f16 v160, v131, 0xba0c, v163
	v_pk_add_f16 v78, v158, v78
	v_pk_add_f16 v75, v124, v75
	v_pk_fma_f16 v90, 0xbbeb, v131, v90 op_sel:[0,0,1] op_sel_hi:[0,1,0]
	v_pk_add_f16 v124, v164, v148
	v_alignbit_b32 v148, s0, v161, 16
	v_add_f16_e32 v144, v153, v144
	v_add_f16_e32 v136, v160, v136
	v_pk_add_f16 v75, v90, v75
	v_pk_add_f16 v90, v161, v124
	;; [unrolled: 1-line block ×3, first 2 shown]
	v_pack_b32_f16 v124, v141, v144
	v_pack_b32_f16 v136, v140, v136
	v_alignbit_b32 v90, v90, v75, 16
	v_pack_b32_f16 v75, v78, v75
	s_barrier
	buffer_gl0_inv
	ds_write2_b32 v120, v43, v74 offset0:1 offset1:2
	ds_write2_b32 v120, v136, v124 offset0:3 offset1:4
	;; [unrolled: 1-line block ×3, first 2 shown]
	v_fmac_f16_e32 v77, 0x3abb, v76
	v_alignbit_b32 v43, s0, v81, 16
	v_fma_f16 v74, v85, 0x36a6, -v86
	v_fmac_f16_e32 v73, 0xb08e, v76
	v_fmac_f16_e32 v142, 0xb93d, v76
	v_fma_f16 v75, v85, 0xb08e, -v92
	v_add_f16_e32 v76, v10, v77
	v_pk_add_f16 v43, v10, v43
	v_alignbit_b32 v77, s0, v87, 16
	v_add_f16_sdwa v74, v10, v74 dst_sel:DWORD dst_unused:UNUSED_PAD src0_sel:WORD_1 src1_sel:DWORD
	v_fma_f16 v78, v88, 0xb93d, -v89
	v_add_f16_sdwa v75, v10, v75 dst_sel:DWORD dst_unused:UNUSED_PAD src0_sel:WORD_1 src1_sel:DWORD
	v_fmac_f16_e32 v143, 0xb08e, v79
	v_pk_add_f16 v43, v77, v43
	v_fma_f16 v77, v88, 0xbbad, -v139
	v_add_f16_e32 v74, v78, v74
	v_add_f16_e32 v78, v10, v142
	v_fma_f16 v72, v85, 0xb93d, -v72
	v_add_f16_e32 v73, v10, v73
	v_add_f16_e32 v75, v77, v75
	v_fmac_f16_e32 v82, 0x36a6, v79
	v_add_f16_e32 v77, v143, v78
	v_fma_f16 v78, v122, 0xbbad, -v123
	v_add_f16_sdwa v72, v10, v72 dst_sel:DWORD dst_unused:UNUSED_PAD src0_sel:WORD_1 src1_sel:DWORD
	v_fmac_f16_e32 v134, 0xbbad, v79
	v_fma_f16 v79, v88, 0xb08e, -v145
	v_alignbit_b32 v81, s0, v91, 16
	v_add_f16_e32 v74, v78, v74
	v_add_f16_sdwa v78, v10, v80 dst_sel:DWORD dst_unused:UNUSED_PAD src0_sel:WORD_1 src1_sel:DWORD
	v_pk_add_f16 v10, v10, v30
	v_add_f16_e32 v72, v79, v72
	v_fma_f16 v79, v122, 0x36a6, -v149
	v_pk_add_f16 v43, v81, v43
	v_add_f16_e32 v30, v84, v78
	v_pk_add_f16 v10, v10, v24
	v_fmac_f16_e32 v151, 0x3abb, v83
	v_add_f16_e32 v75, v79, v75
	v_fma_f16 v81, v122, 0x3abb, -v150
	v_add_f16_e32 v24, v121, v30
	v_pk_add_f16 v10, v10, v20
	v_add_f16_e32 v73, v134, v73
	v_fmac_f16_e32 v146, 0x36a6, v83
	v_fma_f16 v78, v129, 0x3abb, -v147
	v_add_f16_e32 v20, v127, v24
	v_pk_add_f16 v10, v10, v16
	v_pk_add_f16 v16, v11, v31
	v_add_f16_e32 v77, v151, v77
	v_add_f16_e32 v72, v81, v72
	;; [unrolled: 1-line block ×3, first 2 shown]
	v_pk_add_f16 v10, v10, v12
	v_pk_mul_f16 v20, 0x3853b482, v131
	v_fmac_f16_e32 v154, 0xbbad, v93
	v_fma_f16 v30, v129, 0xbbad, -v156
	v_pk_add_f16 v16, v16, v25
	v_pk_add_f16 v10, v10, v14
	v_bfi_b32 v20, 0xffff, v75, v20
	v_mul_f16_e32 v75, 0xba0c, v131
	v_add_f16_e32 v73, v146, v73
	v_fma_f16 v79, v129, 0xb08e, -v130
	v_pk_add_f16 v10, v10, v18
	v_lshlrev_b32_e32 v18, 16, v43
	v_fmac_f16_e32 v152, 0x3abb, v93
	v_pack_b32_f16 v14, v78, v132
	v_pk_add_f16 v43, v163, v75 neg_lo:[0,1] neg_hi:[0,1]
	v_add_f16_e32 v24, v154, v77
	v_pk_add_f16 v18, v125, v18
	v_add_f16_e32 v30, v30, v72
	v_fmac_f16_e32 v157, 0x36a6, v128
	v_fma_f16 v72, v137, 0x36a6, -v159
	v_pk_add_f16 v16, v16, v21
	v_pk_add_f16 v10, v10, v22
	v_add_f16_e32 v74, v79, v74
	v_add_f16_e32 v73, v152, v73
	v_fmac_f16_e32 v155, 0xb93d, v128
	v_fma_f16 v12, v137, 0x3abb, -v138
	v_pk_add_f16 v14, v14, v20
	v_bfi_b32 v18, 0xffff, v43, v18
	v_pk_add_f16 v16, v16, v17
	v_add_f16_e32 v22, v157, v24
	v_pk_add_f16 v10, v10, v28
	v_add_f16_e32 v20, v72, v30
	v_add_f16_e32 v12, v12, v74
	;; [unrolled: 1-line block ×3, first 2 shown]
	v_pk_add_f16 v14, v18, v14
	v_pk_add_f16 v16, v16, v13
	;; [unrolled: 1-line block ×3, first 2 shown]
	v_pack_b32_f16 v20, v22, v20
	v_pk_add_f16 v18, v31, v27 neg_lo:[0,1] neg_hi:[0,1]
	v_pk_add_f16 v22, v27, v31
	v_alignbit_b32 v12, v12, v14, 16
	v_pack_b32_f16 v14, v24, v14
	v_pk_add_f16 v16, v16, v15
	v_mul_f16_sdwa v24, v18, v49 dst_sel:DWORD dst_unused:UNUSED_PAD src0_sel:WORD_1 src1_sel:DWORD
	v_pk_mul_f16 v28, 0x3abb36a6, v22
	ds_write2_b32 v120, v10, v20 offset1:7
	ds_write2_b32 v120, v14, v12 offset0:8 offset1:9
	v_pk_add_f16 v12, v25, v29 neg_lo:[0,1] neg_hi:[0,1]
	v_add_f16_e32 v76, v82, v76
	v_fmac_f16_e32 v94, 0xb08e, v83
	v_pk_add_f16 v16, v16, v19
	v_fma_f16 v10, v22, 0x3abb, -v24
	v_pk_fma_f16 v26, 0xbb47b853, v18, v28 op_sel:[0,0,1] op_sel_hi:[1,1,0] neg_lo:[0,1,0] neg_hi:[0,1,0]
	v_pk_fma_f16 v30, 0xbb47b853, v18, v28 op_sel:[0,0,1] op_sel_hi:[1,1,0]
	v_pk_add_f16 v14, v29, v25
	v_mul_f16_sdwa v28, v12, v66 dst_sel:DWORD dst_unused:UNUSED_PAD src0_sel:WORD_1 src1_sel:DWORD
	v_add_f16_e32 v76, v94, v76
	v_fmac_f16_e32 v126, 0xb93d, v93
	v_pk_add_f16 v16, v16, v23
	v_add_f16_e32 v20, v11, v10
	v_fma_f16 v43, v14, 0x36a6, -v28
	v_fmac_f16_e32 v133, 0xbbad, v128
	v_add_f16_e32 v76, v126, v76
	v_lshrrev_b32_e32 v31, 16, v22
	v_mul_f16_e32 v72, 0xbb47, v18
	v_pk_add_f16 v16, v16, v29
	v_bfi_b32 v25, 0xffff, v30, v26
	v_pk_mul_f16 v73, 0x36a6b93d, v14
	v_add_f16_e32 v43, v43, v20
	v_pk_add_f16 v20, v23, v21
	v_add_f16_e32 v88, v133, v76
	v_fmamk_f16 v29, v31, 0x36a6, v72
	v_pk_add_f16 v10, v16, v27
	v_pk_add_f16 v74, v11, v25 op_sel:[1,0] op_sel_hi:[0,1]
	v_pk_fma_f16 v25, 0xba0cbb47, v12, v73 op_sel:[0,0,1] op_sel_hi:[1,1,0] neg_lo:[0,1,0] neg_hi:[0,1,0]
	v_pk_fma_f16 v27, 0xba0cbb47, v12, v73 op_sel:[0,0,1] op_sel_hi:[1,1,0]
	v_pk_add_f16 v16, v21, v23 neg_lo:[0,1] neg_hi:[0,1]
	v_lshrrev_b32_e32 v23, 16, v14
	v_mul_f16_e32 v73, 0xba0c, v12
	v_pk_mul_f16 v76, 0xb08ebbad, v20
	v_add_f16_sdwa v29, v11, v29 dst_sel:DWORD dst_unused:UNUSED_PAD src0_sel:WORD_1 src1_sel:DWORD
	v_pk_add_f16 v21, v19, v17
	v_pk_add_f16 v17, v17, v19 neg_lo:[0,1] neg_hi:[0,1]
	v_bfi_b32 v77, 0xffff, v27, v25
	v_pk_add_f16 v19, v15, v13
	v_mul_f16_sdwa v80, v16, v52 dst_sel:DWORD dst_unused:UNUSED_PAD src0_sel:WORD_1 src1_sel:DWORD
	v_pk_fma_f16 v75, 0x3482bbeb, v16, v76 op_sel:[0,0,1] op_sel_hi:[1,1,0] neg_lo:[0,1,0] neg_hi:[0,1,0]
	v_pk_fma_f16 v84, 0x3482bbeb, v16, v76 op_sel:[0,0,1] op_sel_hi:[1,1,0]
	v_pk_add_f16 v13, v13, v15 neg_lo:[0,1] neg_hi:[0,1]
	v_fmamk_f16 v15, v23, 0xb93d, v73
	v_pk_add_f16 v74, v77, v74
	v_fma_f16 v76, v20, 0xb08e, -v80
	v_bfi_b32 v77, 0xffff, v84, v75
	v_lshrrev_b32_e32 v81, 16, v20
	v_mul_f16_e32 v87, 0x3482, v16
	v_add_f16_e32 v78, v15, v29
	v_pk_mul_f16 v15, 0xb93db08e, v21
	v_add_f16_e32 v43, v76, v43
	v_pk_add_f16 v74, v77, v74
	v_fmamk_f16 v76, v81, 0xbbad, v87
	v_mul_f16_sdwa v82, v17, v48 dst_sel:DWORD dst_unused:UNUSED_PAD src0_sel:WORD_1 src1_sel:DWORD
	v_pk_fma_f16 v77, 0x3bebba0c, v17, v15 op_sel:[0,0,1] op_sel_hi:[1,1,0] neg_lo:[0,1,0] neg_hi:[0,1,0]
	v_pk_fma_f16 v15, 0x3bebba0c, v17, v15 op_sel:[0,0,1] op_sel_hi:[1,1,0]
	v_lshrrev_b32_e32 v79, 16, v21
	v_mul_f16_e32 v86, 0x3beb, v17
	v_pk_mul_f16 v29, 0xbbad3abb, v19
	v_add_f16_e32 v85, v76, v78
	v_fma_f16 v90, v21, 0xb93d, -v82
	v_bfi_b32 v91, 0xffff, v15, v77
	v_fmamk_f16 v92, v79, 0xb08e, v86
	v_pack_b32_f16 v88, v88, v89
	v_pk_fma_f16 v78, 0x3853b482, v13, v29 op_sel:[0,0,1] op_sel_hi:[1,1,0] neg_lo:[0,1,0] neg_hi:[0,1,0]
	v_pk_fma_f16 v93, 0x3853b482, v13, v29 op_sel:[0,0,1] op_sel_hi:[1,1,0]
	v_lshrrev_b32_e32 v76, 16, v19
	v_mul_f16_e32 v83, 0x3853, v13
	v_pk_add_f16 v74, v91, v74
	v_add_f16_e32 v91, v92, v85
	v_mul_f16_sdwa v85, v13, v71 dst_sel:DWORD dst_unused:UNUSED_PAD src0_sel:WORD_1 src1_sel:DWORD
	v_add_f16_e32 v89, v90, v43
	v_add_co_u32 v43, s2, v115, 55
	ds_write_b32 v120, v88 offset:40
	v_add_co_ci_u32_e64 v88, null, 0, 0, s2
	v_bfi_b32 v92, 0xffff, v93, v78
	v_fmamk_f16 v93, v76, 0x3abb, v83
	v_fma_f16 v90, v19, 0xbbad, -v85
	v_mul_u32_u24_e32 v88, 11, v43
	v_mul_f16_sdwa v127, v18, v52 dst_sel:DWORD dst_unused:UNUSED_PAD src0_sel:WORD_1 src1_sel:DWORD
	v_pk_add_f16 v74, v92, v74
	v_add_f16_e32 v91, v93, v91
	v_add_f16_e32 v89, v90, v89
	v_mul_f16_e32 v136, 0xbbeb, v18
	v_lshlrev_b32_e32 v122, 2, v88
	v_fma_f16 v88, v22, 0xb08e, -v127
	v_mul_f16_sdwa v137, v12, v70 dst_sel:DWORD dst_unused:UNUSED_PAD src0_sel:WORD_1 src1_sel:DWORD
	v_mul_f16_sdwa v139, v18, v48 dst_sel:DWORD dst_unused:UNUSED_PAD src0_sel:WORD_1 src1_sel:DWORD
	v_alignbit_b32 v90, v91, v74, 16
	v_pack_b32_f16 v74, v89, v74
	v_fmamk_f16 v70, v31, 0xb08e, v136
	v_mul_f16_e32 v138, 0x3482, v12
	v_add_f16_e32 v88, v11, v88
	v_fma_f16 v89, v14, 0xbbad, -v137
	v_fma_f16 v92, v22, 0xb93d, -v139
	v_mul_f16_e32 v140, 0xba0c, v18
	v_mul_f16_sdwa v141, v12, v69 dst_sel:DWORD dst_unused:UNUSED_PAD src0_sel:WORD_1 src1_sel:DWORD
	v_add_f16_sdwa v70, v11, v70 dst_sel:DWORD dst_unused:UNUSED_PAD src0_sel:WORD_1 src1_sel:DWORD
	v_fmamk_f16 v91, v23, 0xbbad, v138
	ds_write2_b32 v122, v74, v90 offset0:1 offset1:2
	v_add_f16_e32 v74, v89, v88
	v_add_f16_e32 v88, v11, v92
	v_fmamk_f16 v89, v31, 0xb93d, v140
	v_mul_f16_e32 v142, 0x3beb, v12
	v_mul_f16_sdwa v143, v16, v44 dst_sel:DWORD dst_unused:UNUSED_PAD src0_sel:WORD_1 src1_sel:DWORD
	v_mul_f16_e32 v144, 0x3b47, v16
	v_fma_f16 v90, v14, 0xb08e, -v141
	v_mul_f16_sdwa v145, v16, v49 dst_sel:DWORD dst_unused:UNUSED_PAD src0_sel:WORD_1 src1_sel:DWORD
	v_add_f16_e32 v70, v91, v70
	v_add_f16_sdwa v89, v11, v89 dst_sel:DWORD dst_unused:UNUSED_PAD src0_sel:WORD_1 src1_sel:DWORD
	v_fmamk_f16 v91, v23, 0xb08e, v142
	v_fma_f16 v92, v20, 0x36a6, -v143
	v_fmamk_f16 v93, v81, 0x36a6, v144
	v_add_f16_e32 v88, v90, v88
	v_fma_f16 v90, v20, 0x3abb, -v145
	v_mul_f16_e32 v146, 0xb853, v16
	v_mul_f16_e32 v148, 0xb853, v17
	v_add_f16_e32 v89, v91, v89
	v_add_f16_e32 v74, v92, v74
	v_add_f16_e32 v70, v93, v70
	v_mul_f16_sdwa v147, v17, v49 dst_sel:DWORD dst_unused:UNUSED_PAD src0_sel:WORD_1 src1_sel:DWORD
	v_mul_f16_sdwa v149, v17, v71 dst_sel:DWORD dst_unused:UNUSED_PAD src0_sel:WORD_1 src1_sel:DWORD
	v_add_f16_e32 v88, v90, v88
	v_fmamk_f16 v90, v81, 0x3abb, v146
	v_fmamk_f16 v92, v79, 0x3abb, v148
	v_mul_f16_e32 v150, 0xb482, v17
	v_fma_f16 v91, v21, 0x3abb, -v147
	v_fma_f16 v93, v21, 0xbbad, -v149
	v_add_f16_e32 v89, v90, v89
	v_add_f16_e32 v90, v92, v70
	v_fmamk_f16 v70, v79, 0xbbad, v150
	v_mul_f16_sdwa v151, v13, v48 dst_sel:DWORD dst_unused:UNUSED_PAD src0_sel:WORD_1 src1_sel:DWORD
	v_mul_f16_sdwa v152, v13, v44 dst_sel:DWORD dst_unused:UNUSED_PAD src0_sel:WORD_1 src1_sel:DWORD
	v_mul_f16_e32 v153, 0x3b47, v13
	v_mul_f16_e32 v154, 0xb93d, v76
	v_add_f16_e32 v74, v91, v74
	v_add_f16_e32 v88, v93, v88
	;; [unrolled: 1-line block ×3, first 2 shown]
	v_fma_f16 v91, v19, 0xb93d, -v151
	v_fma_f16 v92, v19, 0x36a6, -v152
	v_fmamk_f16 v93, v76, 0x36a6, v153
	v_fmamk_f16 v94, v13, 0xba0c, v154
	v_mul_f16_sdwa v70, v51, v49 dst_sel:DWORD dst_unused:UNUSED_PAD src0_sel:WORD_1 src1_sel:DWORD
	v_add_f16_e32 v74, v91, v74
	v_add_f16_e32 v91, v92, v88
	;; [unrolled: 1-line block ×4, first 2 shown]
	v_fmamk_f16 v93, v34, 0x3abb, v70
	v_lshrrev_b32_e32 v90, 16, v34
	v_mul_f16_e32 v88, 0xbb47, v51
	v_pack_b32_f16 v94, v91, v89
	v_pack_b32_f16 v92, v74, v92
	v_mul_f16_sdwa v74, v54, v66 dst_sel:DWORD dst_unused:UNUSED_PAD src0_sel:WORD_1 src1_sel:DWORD
	v_add_f16_e32 v66, v93, v0
	v_fma_f16 v93, v90, 0x36a6, -v88
	v_lshrrev_b32_e32 v91, 16, v38
	v_mul_f16_e32 v89, 0xba0c, v54
	ds_write2_b32 v122, v92, v94 offset0:3 offset1:4
	v_fmamk_f16 v121, v38, 0x36a6, v74
	v_add_f16_sdwa v93, v93, v0 dst_sel:DWORD dst_unused:UNUSED_PAD src0_sel:DWORD src1_sel:WORD_1
	v_mul_f16_e32 v92, 0xbbeb, v51
	v_fma_f16 v94, v91, 0xb93d, -v89
	v_add_f16_e32 v68, v68, v0
	v_add_f16_e32 v66, v121, v66
	v_mul_f16_e32 v123, 0x3482, v54
	v_fmamk_f16 v121, v90, 0xb08e, v92
	v_add_f16_e32 v93, v94, v93
	v_mul_f16_sdwa v94, v51, v48 dst_sel:DWORD dst_unused:UNUSED_PAD src0_sel:WORD_1 src1_sel:DWORD
	v_fma_f16 v92, v90, 0xb08e, -v92
	v_mul_f16_sdwa v69, v54, v69 dst_sel:DWORD dst_unused:UNUSED_PAD src0_sel:WORD_1 src1_sel:DWORD
	v_mul_f16_e32 v125, 0xba0c, v51
	v_add_f16_e32 v68, v67, v68
	v_fma_f16 v124, v34, 0xb93d, -v94
	v_add_f16_sdwa v67, v121, v0 dst_sel:DWORD dst_unused:UNUSED_PAD src0_sel:DWORD src1_sel:WORD_1
	v_fmamk_f16 v121, v91, 0xbbad, v123
	v_fma_f16 v123, v91, 0xbbad, -v123
	v_add_f16_sdwa v92, v92, v0 dst_sel:DWORD dst_unused:UNUSED_PAD src0_sel:DWORD src1_sel:WORD_1
	v_add_f16_e32 v124, v124, v0
	v_fma_f16 v126, v38, 0xb08e, -v69
	v_fmamk_f16 v128, v90, 0xb93d, v125
	v_mul_f16_e32 v129, 0x3beb, v54
	v_fmac_f16_e32 v94, 0xb93d, v34
	v_add_f16_e32 v121, v121, v67
	v_add_f16_e32 v123, v123, v92
	;; [unrolled: 1-line block ×3, first 2 shown]
	v_add_f16_sdwa v92, v128, v0 dst_sel:DWORD dst_unused:UNUSED_PAD src0_sel:DWORD src1_sel:WORD_1
	v_fmamk_f16 v126, v91, 0xb08e, v129
	v_fma_f16 v125, v90, 0xb93d, -v125
	v_pk_mul_f16 v67, 0xb482b853, v51
	v_fmac_f16_e32 v69, 0xb08e, v38
	v_add_f16_e32 v94, v94, v0
	v_fma_f16 v128, v91, 0xb08e, -v129
	v_add_f16_sdwa v125, v125, v0 dst_sel:DWORD dst_unused:UNUSED_PAD src0_sel:DWORD src1_sel:WORD_1
	v_pk_fma_f16 v129, 0x3abbbbad, v34, v67 op_sel:[0,0,1] op_sel_hi:[1,1,0] neg_lo:[0,0,1] neg_hi:[0,0,1]
	v_add_f16_e32 v126, v126, v92
	v_add_f16_e32 v69, v69, v94
	v_mul_f16_e32 v94, 0xb482, v51
	v_pk_mul_f16 v92, 0x3853bb47, v54
	v_add_f16_e32 v125, v128, v125
	v_pk_add_f16 v128, v129, v0
	v_mul_f16_e32 v129, 0x3853, v54
	v_fma_f16 v130, v90, 0xbbad, -v94
	v_mul_f16_sdwa v51, v53, v52 dst_sel:DWORD dst_unused:UNUSED_PAD src0_sel:WORD_1 src1_sel:DWORD
	v_lshrrev_b32_e32 v54, 16, v40
	v_mul_f16_e32 v52, 0x3482, v53
	v_pk_fma_f16 v131, 0x36a63abb, v38, v92 op_sel:[0,0,1] op_sel_hi:[1,1,0] neg_lo:[0,0,1] neg_hi:[0,0,1]
	v_add_f16_sdwa v130, v130, v0 dst_sel:DWORD dst_unused:UNUSED_PAD src0_sel:DWORD src1_sel:WORD_1
	v_fma_f16 v132, v91, 0x3abb, -v129
	v_fmamk_f16 v133, v40, 0xb08e, v51
	v_fma_f16 v134, v54, 0xbbad, -v52
	v_pk_add_f16 v128, v131, v128
	v_mul_f16_e32 v131, 0x3b47, v53
	v_mul_f16_sdwa v49, v53, v49 dst_sel:DWORD dst_unused:UNUSED_PAD src0_sel:WORD_1 src1_sel:DWORD
	v_add_f16_e32 v130, v132, v130
	v_add_f16_e32 v66, v133, v66
	;; [unrolled: 1-line block ×3, first 2 shown]
	v_fmamk_f16 v93, v54, 0x36a6, v131
	v_mul_f16_e32 v133, 0xb853, v53
	v_fma_f16 v131, v54, 0x36a6, -v131
	v_add_f16_e32 v68, v55, v68
	v_fma_f16 v55, v40, 0x3abb, -v49
	v_add_f16_e32 v121, v93, v121
	v_fmamk_f16 v93, v54, 0x3abb, v133
	v_add_f16_e32 v123, v131, v123
	v_fmac_f16_e32 v49, 0x3abb, v40
	v_add_f16_e32 v124, v55, v124
	v_pk_mul_f16 v55, 0xba0cbbeb, v53
	v_mul_f16_e32 v131, 0xba0c, v53
	v_add_f16_e32 v126, v93, v126
	v_add_f16_e32 v53, v49, v69
	v_fma_f16 v69, v54, 0x3abb, -v133
	v_pk_fma_f16 v133, 0xb08eb93d, v40, v55 op_sel:[0,0,1] op_sel_hi:[1,1,0] neg_lo:[0,0,1] neg_hi:[0,0,1]
	v_mul_f16_sdwa v48, v50, v48 dst_sel:DWORD dst_unused:UNUSED_PAD src0_sel:WORD_1 src1_sel:DWORD
	v_fma_f16 v134, v54, 0xb93d, -v131
	v_lshrrev_b32_e32 v93, 16, v41
	v_mul_f16_e32 v49, 0x3beb, v50
	v_add_f16_e32 v69, v69, v125
	v_fmamk_f16 v125, v41, 0xb93d, v48
	v_pk_add_f16 v128, v133, v128
	v_add_f16_e32 v130, v134, v130
	v_fma_f16 v133, v93, 0xb08e, -v49
	v_mul_f16_e32 v134, 0xb853, v50
	v_add_f16_e32 v66, v125, v66
	v_mul_f16_sdwa v125, v50, v71 dst_sel:DWORD dst_unused:UNUSED_PAD src0_sel:WORD_1 src1_sel:DWORD
	v_mul_f16_e32 v135, 0xb482, v50
	v_add_f16_e32 v132, v133, v132
	v_fmamk_f16 v133, v93, 0x3abb, v134
	v_fma_f16 v134, v93, 0x3abb, -v134
	v_fma_f16 v155, v41, 0xbbad, -v125
	v_fmamk_f16 v156, v93, 0xbbad, v135
	v_add_f16_e32 v68, v65, v68
	v_add_f16_e32 v157, v133, v121
	v_fmac_f16_e32 v125, 0xbbad, v41
	v_fma_f16 v65, v93, 0xbbad, -v135
	v_pk_mul_f16 v133, 0x3b47ba0c, v50
	v_mul_f16_e32 v135, 0x3b47, v50
	v_mul_f16_sdwa v50, v47, v71 dst_sel:DWORD dst_unused:UNUSED_PAD src0_sel:WORD_1 src1_sel:DWORD
	v_add_f16_e32 v158, v134, v123
	v_add_f16_e32 v155, v155, v124
	;; [unrolled: 1-line block ×5, first 2 shown]
	v_pk_fma_f16 v65, 0xb93d36a6, v41, v133 op_sel:[0,0,1] op_sel_hi:[1,1,0] neg_lo:[0,0,1] neg_hi:[0,0,1]
	v_fma_f16 v71, v93, 0x36a6, -v135
	v_fmamk_f16 v121, v45, 0xbbad, v50
	v_lshrrev_b32_e32 v134, 16, v45
	v_mul_f16_e32 v53, 0x3853, v47
	v_mul_f16_e32 v124, 0xba0c, v47
	v_pk_add_f16 v159, v65, v128
	v_add_f16_e32 v130, v71, v130
	v_add_f16_e32 v121, v121, v66
	v_fma_f16 v66, v134, 0x3abb, -v53
	v_fmamk_f16 v71, v134, 0xb93d, v124
	v_pk_fma_f16 v128, 0x3abbbbad, v34, v67 op_sel:[0,0,1] op_sel_hi:[1,1,0]
	v_mul_f16_e32 v160, 0x3abb, v91
	v_fmamk_f16 v94, v90, 0xbbad, v94
	v_pk_mul_f16 v65, 0x36a63abb, v38
	v_add_f16_e32 v123, v66, v132
	v_add_f16_e32 v125, v71, v157
	v_pack_b32_f16 v66, v129, v128
	v_perm_b32 v128, v0, v160, 0x5040100
	v_pack_b32_f16 v94, v94, v65
	v_perm_b32 v129, v92, v0, 0x7060302
	v_pk_mul_f16 v71, 0xb08eb93d, v40
	v_mul_f16_e32 v132, 0xb93d, v54
	v_fma_f16 v124, v134, 0xb93d, -v124
	v_pk_add_f16 v66, v66, v128
	v_pk_add_f16 v128, v94, v129
	v_pack_b32_f16 v129, v131, v71
	v_bfi_b32 v131, 0xffff, v132, v55
	v_pk_mul_f16 v94, 0xb93d36a6, v41
	v_mul_f16_e32 v132, 0x36a6, v93
	v_add_f16_e32 v124, v124, v158
	v_pk_add_f16 v66, v128, v66
	v_pk_add_f16 v128, v129, v131
	v_mul_f16_e32 v131, 0x3b47, v47
	v_pack_b32_f16 v129, v135, v94
	v_bfi_b32 v157, 0xffff, v132, v133
	v_pk_mul_f16 v135, 0xbbebb482, v47
	v_mul_f16_e32 v158, 0xbbeb, v47
	v_mul_f16_e32 v160, 0xb08e, v134
	v_pk_mul_f16 v132, 0xbbadb08e, v45
	v_fmamk_f16 v161, v134, 0x36a6, v131
	v_pk_add_f16 v66, v128, v66
	v_pk_add_f16 v128, v129, v157
	v_bfi_b32 v157, 0xffff, v160, v135
	v_pack_b32_f16 v160, v158, v132
	v_add_f16_e32 v129, v161, v126
	v_fma_f16 v126, v134, 0x36a6, -v131
	v_pk_add_f16 v66, v128, v66
	v_pk_fma_f16 v131, 0xbbadb08e, v45, v135 op_sel:[0,0,1] op_sel_hi:[1,1,0] neg_lo:[0,0,1] neg_hi:[0,0,1]
	v_pk_add_f16 v157, v160, v157
	v_fmac_f16_e32 v24, 0x3abb, v22
	v_add_f16_e32 v128, v126, v69
	v_mul_f16_sdwa v47, v47, v44 dst_sel:DWORD dst_unused:UNUSED_PAD src0_sel:WORD_1 src1_sel:DWORD
	v_pk_add_f16 v126, v131, v159
	v_pk_add_f16 v131, v157, v66
	v_fma_f16 v44, v31, 0x36a6, -v72
	v_fma_f16 v66, v31, 0xb08e, -v136
	;; [unrolled: 1-line block ×3, first 2 shown]
	v_pk_mul_f16 v69, 0xbbad, v22 op_sel_hi:[0,1]
	v_fmac_f16_e32 v127, 0xb08e, v22
	v_alignbit_b32 v30, s0, v30, 16
	v_add_f16_e32 v24, v11, v24
	v_fmac_f16_e32 v28, 0x36a6, v14
	v_fmac_f16_e32 v139, 0xb93d, v22
	v_pk_fma_f16 v22, 0xb482, v18, v69 op_sel:[0,0,1] op_sel_hi:[0,1,0] neg_lo:[0,1,0] neg_hi:[0,1,0]
	v_pk_fma_f16 v18, 0xb482, v18, v69 op_sel:[0,0,1] op_sel_hi:[0,1,0]
	v_pk_add_f16 v30, v11, v30
	v_add_f16_sdwa v44, v11, v44 dst_sel:DWORD dst_unused:UNUSED_PAD src0_sel:WORD_1 src1_sel:DWORD
	v_add_f16_e32 v69, v11, v127
	v_add_f16_sdwa v31, v11, v31 dst_sel:DWORD dst_unused:UNUSED_PAD src0_sel:WORD_1 src1_sel:DWORD
	v_alignbit_b32 v27, s0, v27, 16
	v_fma_f16 v73, v23, 0xb93d, -v73
	v_add_f16_e32 v24, v28, v24
	v_fmac_f16_e32 v137, 0xbbad, v14
	v_fma_f16 v28, v23, 0xbbad, -v138
	v_fma_f16 v23, v23, 0xb08e, -v142
	v_add_f16_sdwa v66, v11, v66 dst_sel:DWORD dst_unused:UNUSED_PAD src0_sel:WORD_1 src1_sel:DWORD
	v_pk_add_f16 v27, v27, v30
	v_add_f16_e32 v30, v73, v44
	v_add_f16_e32 v44, v137, v69
	v_alignbit_b32 v69, s0, v84, 16
	v_add_f16_e32 v23, v23, v31
	v_fma_f16 v31, v81, 0xbbad, -v87
	v_fmac_f16_e32 v143, 0x36a6, v20
	v_alignbit_b32 v72, s0, v22, 16
	v_add_f16_e32 v28, v28, v66
	v_pk_add_f16 v27, v69, v27
	v_fma_f16 v69, v81, 0x36a6, -v144
	v_add_f16_e32 v30, v31, v30
	v_add_f16_e32 v31, v143, v44
	v_fma_f16 v44, v81, 0x3abb, -v146
	v_add_f16_e32 v127, v11, v139
	v_add_f16_sdwa v26, v11, v26 dst_sel:DWORD dst_unused:UNUSED_PAD src0_sel:WORD_1 src1_sel:DWORD
	v_pk_add_f16 v72, v11, v72
	v_pk_add_f16 v18, v11, v18 op_sel:[1,0] op_sel_hi:[0,1]
	v_alignbit_b32 v11, s0, v11, 16
	v_fmac_f16_e32 v141, 0xb08e, v14
	v_add_f16_e32 v28, v69, v28
	v_fma_f16 v69, v79, 0xb08e, -v86
	v_add_f16_e32 v23, v44, v23
	v_fma_f16 v44, v79, 0xbbad, -v150
	v_pk_mul_f16 v14, 0x3abb, v14 op_sel_hi:[0,1]
	v_fmac_f16_e32 v80, 0xb08e, v20
	v_fmac_f16_e32 v145, 0x3abb, v20
	v_add_f16_e32 v25, v25, v26
	v_add_f16_e32 v26, v69, v30
	;; [unrolled: 1-line block ×3, first 2 shown]
	v_fma_f16 v44, v76, 0x3abb, -v83
	v_pk_fma_f16 v69, 0x3853, v12, v14 op_sel:[0,0,1] op_sel_hi:[0,1,0] neg_lo:[0,1,0] neg_hi:[0,1,0]
	v_pk_mul_f16 v20, 0xb93d, v20 op_sel_hi:[0,1]
	v_pk_fma_f16 v12, 0x3853, v12, v14 op_sel:[0,0,1] op_sel_hi:[0,1,0]
	v_pk_add_f16 v11, v11, v22
	v_fmac_f16_e32 v147, 0x3abb, v21
	v_add_f16_e32 v26, v44, v26
	v_alignbit_b32 v44, s0, v69, 16
	v_pk_fma_f16 v22, 0xba0c, v16, v20 op_sel:[0,0,1] op_sel_hi:[0,1,0] neg_lo:[0,1,0] neg_hi:[0,1,0]
	v_pk_add_f16 v12, v12, v18
	v_pk_fma_f16 v16, 0xba0c, v16, v20 op_sel:[0,0,1] op_sel_hi:[0,1,0]
	v_pk_mul_f16 v18, 0x36a6, v21 op_sel_hi:[0,1]
	v_pk_add_f16 v11, v69, v11
	v_add_f16_e32 v30, v147, v31
	v_fma_f16 v31, v79, 0x3abb, -v148
	v_fmac_f16_e32 v85, 0xbbad, v19
	v_fmac_f16_e32 v152, 0x36a6, v19
	v_pk_add_f16 v44, v44, v72
	v_alignbit_b32 v20, s0, v22, 16
	v_pk_add_f16 v12, v16, v12
	v_pk_fma_f16 v16, 0x3b47, v17, v18 op_sel:[0,0,1] op_sel_hi:[0,1,0]
	v_pk_add_f16 v11, v22, v11
	v_pk_mul_f16 v22, 0x3853b482, v13
	v_pk_fma_f16 v17, 0x3b47, v17, v18 op_sel:[0,0,1] op_sel_hi:[0,1,0] neg_lo:[0,1,0] neg_hi:[0,1,0]
	v_pk_mul_f16 v18, 0xb08e, v19 op_sel_hi:[0,1]
	v_fmac_f16_e32 v151, 0xb93d, v19
	v_mul_f16_e32 v19, 0xba0c, v13
	v_lshlrev_b32_e32 v27, 16, v27
	v_add_f16_e32 v66, v141, v127
	v_pk_add_f16 v20, v20, v44
	v_pk_add_f16 v12, v16, v12
	v_pack_b32_f16 v16, v31, v29
	v_bfi_b32 v22, 0xffff, v28, v22
	v_pk_fma_f16 v28, 0xbbeb, v13, v18 op_sel:[0,0,1] op_sel_hi:[0,1,0] neg_lo:[0,1,0] neg_hi:[0,1,0]
	v_alignbit_b32 v29, s0, v17, 16
	v_pk_fma_f16 v13, 0xbbeb, v13, v18 op_sel:[0,0,1] op_sel_hi:[0,1,0]
	v_pk_add_f16 v18, v154, v19 neg_lo:[0,1] neg_hi:[0,1]
	v_pk_add_f16 v15, v15, v27
	v_add_f16_e32 v66, v145, v66
	v_fmac_f16_e32 v149, 0xbbad, v21
	v_add_f16_e32 v24, v80, v24
	v_fmac_f16_e32 v82, 0xb93d, v21
	v_add_f16_e32 v25, v75, v25
	v_pk_add_f16 v11, v17, v11
	v_pk_add_f16 v17, v29, v20
	v_alignbit_b32 v19, s0, v28, 16
	v_pk_add_f16 v12, v13, v12
	v_pk_add_f16 v13, v16, v22
	v_bfi_b32 v15, 0xffff, v18, v15
	v_add_f16_e32 v66, v149, v66
	v_fma_f16 v21, v76, 0x36a6, -v153
	v_add_f16_e32 v24, v82, v24
	v_add_f16_e32 v25, v77, v25
	v_fma_f16 v158, v134, 0xb08e, -v158
	v_pk_add_f16 v11, v28, v11
	v_pk_add_f16 v16, v19, v17
	;; [unrolled: 1-line block ×3, first 2 shown]
	v_fma_f16 v15, v45, 0x36a6, -v47
	v_fmac_f16_e32 v47, 0x36a6, v45
	v_add_co_u32 v44, null, 0x6e, v115
	v_add_f16_e32 v14, v152, v66
	v_add_f16_e32 v17, v21, v23
	;; [unrolled: 1-line block ×6, first 2 shown]
	v_alignbit_b32 v11, v11, v12, 16
	v_pack_b32_f16 v12, v16, v12
	v_add_f16_e32 v68, v46, v68
	v_add_f16_e32 v69, v15, v155
	;; [unrolled: 1-line block ×3, first 2 shown]
	v_mul_u32_u24_e32 v127, 11, v44
	v_pack_b32_f16 v14, v14, v17
	v_alignbit_b32 v16, v26, v13, 16
	v_pack_b32_f16 v13, v18, v13
	v_pack_b32_f16 v15, v24, v25
	ds_write2_b32 v122, v12, v11 offset0:5 offset1:6
	ds_write2_b32 v122, v10, v14 offset1:7
	ds_write2_b32 v122, v13, v16 offset0:8 offset1:9
	ds_write_b32 v122, v15 offset:40
	s_and_saveexec_b32 s2, vcc_lo
	s_cbranch_execz .LBB0_7
; %bb.6:
	v_mul_f16_e32 v12, 0x36a6, v90
	v_pk_add_f16 v1, v1, v0
	v_mul_f16_e32 v15, 0xb93d, v91
	v_pk_mul_f16 v25, 0x3abbbbad, v34
	v_mul_f16_e32 v10, 0x3abb, v34
	v_add_f16_e32 v12, v88, v12
	v_pk_add_f16 v1, v8, v1
	v_mul_f16_e32 v18, 0xbbad, v54
	v_add_f16_e32 v15, v89, v15
	v_alignbit_b32 v26, v67, v67, 16
	v_add_f16_sdwa v12, v12, v0 dst_sel:DWORD dst_unused:UNUSED_PAD src0_sel:DWORD src1_sel:WORD_1
	v_bfi_b32 v8, 0xffff, v70, v25
	v_pk_add_f16 v1, v9, v1
	v_mul_f16_e32 v11, 0x36a6, v34
	v_mul_f16_e32 v13, 0x36a6, v38
	v_add_f16_e32 v12, v15, v12
	v_add_f16_e32 v15, v52, v18
	v_alignbit_b32 v18, v92, v92, 16
	v_pk_add_f16 v8, v10, v8 neg_lo:[0,1] neg_hi:[0,1]
	v_pk_add_f16 v9, v26, v25
	v_bfi_b32 v10, 0xffff, v74, v65
	v_pk_add_f16 v1, v6, v1
	v_mul_f16_e32 v14, 0xb93d, v38
	v_mul_f16_e32 v16, 0xb08e, v40
	v_alignbit_b32 v27, v55, v55, 16
	v_sub_f16_e32 v11, v11, v36
	v_bfi_b32 v6, 0xffff, v51, v71
	v_bfi_b32 v8, 0xffff, v8, v9
	v_pk_add_f16 v9, v13, v10 neg_lo:[0,1] neg_hi:[0,1]
	v_pk_add_f16 v10, v18, v65
	v_pk_add_f16 v1, v7, v1
	v_mul_f16_e32 v17, 0xbbad, v40
	v_mul_f16_e32 v19, 0xb93d, v41
	;; [unrolled: 1-line block ×3, first 2 shown]
	v_alignbit_b32 v28, v133, v133, 16
	v_add_f16_e32 v11, v11, v0
	v_sub_f16_e32 v14, v14, v33
	v_pk_add_f16 v6, v16, v6 neg_lo:[0,1] neg_hi:[0,1]
	v_pk_add_f16 v7, v27, v71
	v_bfi_b32 v13, 0xffff, v48, v94
	v_bfi_b32 v9, 0xffff, v9, v10
	v_pk_add_f16 v1, v4, v1
	v_pk_add_f16 v0, v8, v0
	v_mul_f16_e32 v20, 0xb08e, v41
	v_mul_f16_e32 v22, 0xbbad, v45
	v_add_f16_e32 v12, v15, v12
	v_add_f16_e32 v15, v49, v21
	v_alignbit_b32 v21, v135, v135, 16
	v_add_f16_e32 v11, v14, v11
	v_sub_f16_e32 v14, v17, v37
	v_bfi_b32 v4, 0xffff, v6, v7
	v_pk_add_f16 v6, v19, v13 neg_lo:[0,1] neg_hi:[0,1]
	v_pk_add_f16 v7, v28, v94
	v_pk_add_f16 v1, v5, v1
	;; [unrolled: 1-line block ×3, first 2 shown]
	v_bfi_b32 v5, 0xffff, v50, v132
	v_mul_f16_e32 v23, 0x3abb, v45
	v_mul_f16_e32 v24, 0x3abb, v134
	v_add_f16_e32 v11, v14, v11
	v_sub_f16_e32 v8, v20, v35
	v_bfi_b32 v6, 0xffff, v6, v7
	v_pk_add_f16 v1, v2, v1
	v_pk_add_f16 v0, v4, v0
	v_pk_add_f16 v2, v22, v5 neg_lo:[0,1] neg_hi:[0,1]
	v_pk_add_f16 v4, v21, v132
	v_add_f16_e32 v12, v15, v12
	v_add_f16_e32 v5, v53, v24
	;; [unrolled: 1-line block ×3, first 2 shown]
	v_pk_add_f16 v1, v3, v1
	v_pk_add_f16 v0, v6, v0
	v_bfi_b32 v2, 0xffff, v2, v4
	v_sub_f16_e32 v3, v23, v39
	v_add_f16_e32 v4, v5, v12
	v_lshlrev_b32_e32 v5, 2, v127
	v_pk_add_f16 v1, v32, v1
	v_pk_add_f16 v0, v2, v0
	v_add_f16_e32 v2, v3, v7
	v_perm_b32 v3, v131, v126, 0x5040100
	v_perm_b32 v6, v124, v63, 0x5040100
	;; [unrolled: 1-line block ×3, first 2 shown]
	ds_write2_b32 v5, v1, v0 offset1:1
	v_pack_b32_f16 v0, v2, v4
	v_perm_b32 v1, v125, v68, 0x5040100
	v_perm_b32 v2, v129, v69, 0x5040100
	v_alignbit_b32 v4, v130, v131, 16
	v_bfi_b32 v8, 0xffff, v121, v126
	v_perm_b32 v9, v123, v64, 0x5040100
	ds_write2_b32 v5, v0, v1 offset0:2 offset1:3
	ds_write_b32 v5, v2 offset:16
	ds_write2_b32 v5, v3, v4 offset0:5 offset1:6
	ds_write2_b32 v5, v7, v6 offset0:7 offset1:8
	;; [unrolled: 1-line block ×3, first 2 shown]
.LBB0_7:
	s_or_b32 exec_lo, exec_lo, s2
	v_and_b32_e32 v0, 0xff, v115
	v_and_b32_e32 v2, 0xff, v43
	v_add_co_u32 v67, null, 0xdc, v115
	v_mov_b32_e32 v1, 0xba2f
	v_mul_lo_u16 v0, 0x75, v0
	v_and_b32_e32 v26, 0xff, v44
	v_mul_lo_u16 v2, 0x75, v2
	s_waitcnt lgkmcnt(0)
	v_mul_u32_u24_sdwa v1, v67, v1 dst_sel:DWORD dst_unused:UNUSED_PAD src0_sel:WORD_0 src1_sel:DWORD
	v_lshrrev_b16 v0, 8, v0
	v_mul_lo_u16 v3, 0x75, v26
	v_lshrrev_b16 v2, 8, v2
	s_barrier
	v_lshrrev_b32_e32 v27, 19, v1
	v_sub_nc_u16 v1, v115, v0
	v_lshrrev_b16 v5, 8, v3
	v_sub_nc_u16 v3, v43, v2
	buffer_gl0_inv
	v_mul_lo_u16 v4, v27, 11
	v_lshrrev_b16 v1, 1, v1
	v_add_co_u32 v70, null, 0xa5, v115
	v_lshrrev_b16 v3, 1, v3
	v_sub_nc_u16 v29, v67, v4
	v_and_b32_e32 v1, 0x7f, v1
	v_sub_nc_u16 v4, v44, v5
	v_and_b32_e32 v28, 0xff, v70
	v_and_b32_e32 v3, 0x7f, v3
	v_lshlrev_b16 v6, 2, v29
	v_add_nc_u16 v0, v1, v0
	v_lshrrev_b16 v1, 1, v4
	v_add_nc_u32_e32 v78, 0x800, v95
	v_add_nc_u16 v7, v3, v2
	v_lshlrev_b32_sdwa v4, v42, v6 dst_sel:DWORD dst_unused:UNUSED_PAD src0_sel:DWORD src1_sel:WORD_0
	v_lshrrev_b16 v38, 3, v0
	v_and_b32_e32 v6, 0x7f, v1
	v_add_nc_u32_e32 v79, 0x200, v95
	v_lshrrev_b16 v36, 3, v7
	global_load_dwordx4 v[0:3], v4, s[0:1]
	v_add_nc_u32_e32 v65, 0x1000, v95
	v_add_nc_u16 v5, v6, v5
	v_add_nc_u32_e32 v80, 0x400, v95
	v_mul_lo_u16 v6, v36, 11
	v_add_nc_u32_e32 v81, 0xc00, v95
	v_add_nc_u32_e32 v85, 0xe00, v95
	v_lshrrev_b16 v32, 3, v5
	ds_read2_b32 v[24:25], v95 offset1:55
	v_sub_nc_u16 v5, v43, v6
	ds_read2_b32 v[22:23], v95 offset0:110 offset1:165
	v_mad_u16 v27, v27, 55, v29
	v_mul_lo_u16 v7, v32, 11
	v_and_b32_e32 v37, 0xff, v5
	v_sub_nc_u16 v5, v44, v7
	v_lshlrev_b32_e32 v7, 4, v37
	v_and_b32_e32 v35, 0xff, v5
	global_load_dwordx4 v[12:15], v7, s[0:1]
	v_mul_lo_u16 v4, v38, 11
	s_waitcnt lgkmcnt(1)
	v_lshrrev_b32_e32 v45, 16, v24
	v_lshrrev_b32_e32 v41, 16, v25
	v_sub_nc_u16 v4, v115, v4
	s_waitcnt lgkmcnt(0)
	v_lshrrev_b32_e32 v40, 16, v22
	v_lshrrev_b32_e32 v30, 16, v23
	v_and_b32_e32 v39, 0xff, v4
	v_mul_lo_u16 v4, 0x75, v28
	v_lshlrev_b32_e32 v6, 4, v39
	v_lshrrev_b16 v4, 8, v4
	global_load_dwordx4 v[16:19], v6, s[0:1]
	v_sub_nc_u16 v6, v70, v4
	v_lshrrev_b16 v5, 1, v6
	v_lshlrev_b32_e32 v6, 4, v35
	v_and_b32_e32 v5, 0x7f, v5
	global_load_dwordx4 v[8:11], v6, s[0:1]
	v_add_nc_u16 v4, v5, v4
	v_lshrrev_b16 v34, 3, v4
	v_mul_lo_u16 v4, v34, 11
	v_sub_nc_u16 v4, v70, v4
	v_and_b32_e32 v33, 0xff, v4
	v_lshlrev_b32_e32 v4, 4, v33
	global_load_dwordx4 v[4:7], v4, s[0:1]
	ds_read_b32 v53, v95 offset:5280
	ds_read2_b32 v[20:21], v79 offset0:92 offset1:147
	ds_read2_b32 v[54:55], v78 offset0:38 offset1:93
	;; [unrolled: 1-line block ×10, first 2 shown]
	s_waitcnt vmcnt(0) lgkmcnt(0)
	s_barrier
	buffer_gl0_inv
	v_lshrrev_b32_e32 v77, 16, v53
	v_lshrrev_b32_e32 v84, 16, v21
	;; [unrolled: 1-line block ×21, first 2 shown]
	v_mul_f16_sdwa v50, v147, v1 dst_sel:DWORD dst_unused:UNUSED_PAD src0_sel:DWORD src1_sel:WORD_1
	v_mul_f16_sdwa v51, v148, v2 dst_sel:DWORD dst_unused:UNUSED_PAD src0_sel:DWORD src1_sel:WORD_1
	;; [unrolled: 1-line block ×5, first 2 shown]
	v_fma_f16 v50, v71, v1, -v50
	v_fma_f16 v51, v93, v2, -v51
	v_mul_f16_sdwa v149, v77, v3 dst_sel:DWORD dst_unused:UNUSED_PAD src0_sel:DWORD src1_sel:WORD_1
	v_mul_f16_sdwa v49, v53, v3 dst_sel:DWORD dst_unused:UNUSED_PAD src0_sel:DWORD src1_sel:WORD_1
	;; [unrolled: 1-line block ×3, first 2 shown]
	v_fmac_f16_e32 v46, v145, v0
	v_add_f16_e32 v71, v50, v51
	v_fmac_f16_e32 v47, v147, v1
	v_fmac_f16_e32 v49, v77, v3
	;; [unrolled: 1-line block ×3, first 2 shown]
	v_fma_f16 v77, v53, v3, -v149
	v_fma_f16 v53, -0.5, v71, v20
	v_fma_f16 v52, v91, v0, -v52
	v_sub_f16_e32 v93, v46, v49
	v_add_f16_e32 v91, v20, v52
	v_mul_f16_sdwa v153, v134, v12 dst_sel:DWORD dst_unused:UNUSED_PAD src0_sel:DWORD src1_sel:WORD_1
	v_mul_f16_sdwa v154, v75, v12 dst_sel:DWORD dst_unused:UNUSED_PAD src0_sel:DWORD src1_sel:WORD_1
	;; [unrolled: 1-line block ×8, first 2 shown]
	v_fmac_f16_e32 v154, v134, v12
	v_fma_f16 v55, v55, v13, -v155
	v_fmac_f16_e32 v156, v135, v13
	v_fmac_f16_e32 v158, v136, v14
	v_fma_f16 v74, v74, v15, -v159
	v_fmac_f16_e32 v160, v137, v15
	v_add_f16_e32 v170, v41, v154
	v_sub_f16_e32 v173, v154, v156
	v_add_f16_e32 v171, v156, v158
	v_sub_f16_e32 v159, v156, v158
	;; [unrolled: 2-line block ×3, first 2 shown]
	v_sub_f16_e32 v174, v160, v158
	v_mul_f16_sdwa v71, v84, v16 dst_sel:DWORD dst_unused:UNUSED_PAD src0_sel:DWORD src1_sel:WORD_1
	v_mul_f16_sdwa v145, v21, v16 dst_sel:DWORD dst_unused:UNUSED_PAD src0_sel:DWORD src1_sel:WORD_1
	;; [unrolled: 1-line block ×8, first 2 shown]
	v_fma_f16 v21, v21, v16, -v71
	v_fmac_f16_e32 v145, v84, v16
	v_fma_f16 v54, v54, v17, -v147
	v_fmac_f16_e32 v148, v94, v17
	v_mul_f16_sdwa v161, v138, v8 dst_sel:DWORD dst_unused:UNUSED_PAD src0_sel:DWORD src1_sel:WORD_1
	v_mul_f16_sdwa v162, v76, v8 dst_sel:DWORD dst_unused:UNUSED_PAD src0_sel:DWORD src1_sel:WORD_1
	;; [unrolled: 1-line block ×8, first 2 shown]
	v_fma_f16 v71, v72, v18, -v149
	v_fmac_f16_e32 v150, v132, v18
	v_fma_f16 v72, v73, v19, -v151
	v_fmac_f16_e32 v152, v133, v19
	v_fma_f16 v73, v75, v12, -v153
	v_fma_f16 v75, v82, v14, -v157
	;; [unrolled: 1-line block ×3, first 2 shown]
	v_fmac_f16_e32 v162, v138, v8
	v_fma_f16 v82, v86, v9, -v163
	v_fmac_f16_e32 v164, v139, v9
	v_fma_f16 v83, v83, v10, -v165
	;; [unrolled: 2-line block ×3, first 2 shown]
	v_fmac_f16_e32 v168, v141, v11
	v_sub_f16_e32 v137, v21, v54
	v_sub_f16_e32 v138, v72, v71
	v_add_f16_e32 v139, v21, v72
	v_sub_f16_e32 v140, v54, v21
	v_sub_f16_e32 v141, v71, v72
	;; [unrolled: 1-line block ×3, first 2 shown]
	v_add_f16_e32 v149, v145, v152
	v_sub_f16_e32 v151, v150, v152
	v_add_f16_e32 v153, v25, v73
	v_add_f16_e32 v155, v55, v75
	v_sub_f16_e32 v157, v154, v160
	v_sub_f16_e32 v161, v73, v55
	v_mul_f16_sdwa v86, v142, v4 dst_sel:DWORD dst_unused:UNUSED_PAD src0_sel:DWORD src1_sel:WORD_1
	v_mul_f16_sdwa v88, v90, v4 dst_sel:DWORD dst_unused:UNUSED_PAD src0_sel:DWORD src1_sel:WORD_1
	;; [unrolled: 1-line block ×8, first 2 shown]
	v_fma_f16 v86, v90, v4, -v86
	v_fmac_f16_e32 v88, v142, v4
	v_fma_f16 v87, v87, v5, -v94
	v_fmac_f16_e32 v132, v143, v5
	v_fma_f16 v90, v92, v6, -v133
	v_fmac_f16_e32 v134, v144, v6
	v_fma_f16 v89, v89, v7, -v135
	v_fmac_f16_e32 v136, v146, v7
	v_add_f16_e32 v92, v24, v21
	v_add_f16_e32 v94, v54, v71
	v_sub_f16_e32 v133, v145, v152
	v_add_f16_e32 v142, v45, v145
	v_add_f16_e32 v143, v148, v150
	v_sub_f16_e32 v146, v145, v148
	v_sub_f16_e32 v145, v148, v145
	;; [unrolled: 1-line block ×8, first 2 shown]
	v_add_f16_e32 v186, v40, v162
	v_add_f16_e32 v187, v164, v166
	;; [unrolled: 1-line block ×3, first 2 shown]
	v_sub_f16_e32 v144, v54, v71
	v_add_f16_e32 v165, v73, v74
	v_sub_f16_e32 v172, v55, v75
	v_add_f16_e32 v177, v22, v76
	v_add_f16_e32 v178, v82, v83
	v_sub_f16_e32 v179, v162, v168
	v_sub_f16_e32 v180, v164, v166
	;; [unrolled: 1-line block ×6, first 2 shown]
	v_add_f16_e32 v54, v92, v54
	v_fma_f16 v92, -0.5, v94, v24
	v_add_f16_e32 v94, v137, v138
	v_fma_f16 v24, -0.5, v139, v24
	v_add_f16_e32 v137, v140, v141
	v_add_f16_e32 v138, v142, v148
	v_fma_f16 v139, -0.5, v143, v45
	v_add_f16_e32 v140, v146, v147
	v_fmac_f16_e32 v45, -0.5, v149
	v_add_f16_e32 v141, v145, v151
	v_add_f16_e32 v55, v153, v55
	v_fma_f16 v142, -0.5, v155, v25
	v_add_f16_e32 v143, v161, v163
	v_add_f16_e32 v145, v167, v169
	;; [unrolled: 1-line block ×3, first 2 shown]
	v_fma_f16 v147, -0.5, v171, v41
	v_fmac_f16_e32 v41, -0.5, v175
	v_add_f16_e32 v149, v154, v176
	v_add_f16_e32 v153, v181, v182
	;; [unrolled: 1-line block ×3, first 2 shown]
	v_fma_f16 v156, -0.5, v187, v40
	v_fmac_f16_e32 v40, -0.5, v191
	v_add_f16_e32 v163, v23, v86
	v_add_f16_e32 v164, v87, v90
	v_sub_f16_e32 v169, v86, v87
	v_sub_f16_e32 v170, v89, v90
	v_add_f16_e32 v175, v30, v88
	v_add_f16_e32 v176, v132, v134
	v_add_f16_e32 v182, v88, v136
	v_sub_f16_e32 v135, v148, v150
	v_add_f16_e32 v183, v76, v84
	v_sub_f16_e32 v184, v82, v76
	v_sub_f16_e32 v76, v76, v84
	v_fmac_f16_e32 v25, -0.5, v165
	v_add_f16_e32 v148, v173, v174
	v_add_f16_e32 v82, v177, v82
	v_fma_f16 v151, -0.5, v178, v22
	v_add_f16_e32 v161, v189, v190
	v_sub_f16_e32 v165, v88, v136
	v_sub_f16_e32 v167, v132, v134
	;; [unrolled: 1-line block ×6, first 2 shown]
	v_add_f16_e32 v54, v54, v71
	v_fmamk_f16 v71, v133, 0x3b9c, v92
	v_fmac_f16_e32 v92, 0xbb9c, v133
	v_add_f16_e32 v138, v138, v150
	v_fmamk_f16 v190, v188, 0x3b9c, v40
	v_fmac_f16_e32 v40, 0xbb9c, v188
	v_add_f16_e32 v87, v163, v87
	v_fma_f16 v163, -0.5, v164, v23
	v_add_f16_e32 v164, v169, v170
	v_add_f16_e32 v132, v175, v132
	v_fma_f16 v170, -0.5, v176, v30
	v_fmac_f16_e32 v30, -0.5, v182
	v_sub_f16_e32 v21, v21, v72
	v_sub_f16_e32 v185, v83, v84
	;; [unrolled: 1-line block ×3, first 2 shown]
	v_fma_f16 v22, -0.5, v183, v22
	v_add_f16_e32 v171, v86, v89
	v_sub_f16_e32 v86, v86, v89
	v_sub_f16_e32 v181, v136, v134
	v_sub_f16_e32 v183, v134, v136
	v_add_f16_e32 v155, v155, v166
	v_fmamk_f16 v166, v76, 0xbb9c, v156
	v_fmac_f16_e32 v156, 0x3b9c, v76
	v_add_f16_e32 v54, v54, v72
	v_fmac_f16_e32 v71, 0x38b4, v135
	v_fmac_f16_e32 v92, 0xb8b4, v135
	v_add_f16_e32 v72, v138, v152
	v_fmac_f16_e32 v190, 0xb8b4, v76
	v_fmac_f16_e32 v40, 0x38b4, v76
	v_add_f16_e32 v76, v87, v90
	v_add_f16_e32 v87, v132, v134
	v_fmamk_f16 v138, v177, 0x3b9c, v30
	v_fmac_f16_e32 v30, 0xbb9c, v177
	v_add_f16_e32 v134, v52, v77
	v_add_f16_e32 v154, v184, v185
	v_sub_f16_e32 v174, v90, v89
	v_fmamk_f16 v184, v135, 0xbb9c, v24
	v_fmac_f16_e32 v24, 0x3b9c, v135
	v_add_f16_e32 v88, v88, v183
	v_fmac_f16_e32 v71, 0x34f2, v94
	v_fmac_f16_e32 v92, 0x34f2, v94
	v_add_f16_e32 v76, v76, v89
	v_fmac_f16_e32 v138, 0xb8b4, v86
	v_add_f16_e32 v89, v91, v50
	v_fmamk_f16 v91, v93, 0x3b9c, v53
	v_sub_f16_e32 v94, v47, v48
	v_fmac_f16_e32 v30, 0x38b4, v86
	v_fmac_f16_e32 v20, -0.5, v134
	v_fmac_f16_e32 v53, 0xbb9c, v93
	v_add_f16_e32 v134, v31, v46
	v_fmamk_f16 v150, v21, 0xbb9c, v139
	v_fmac_f16_e32 v184, 0x38b4, v133
	v_fmac_f16_e32 v24, 0xb8b4, v133
	v_fmamk_f16 v90, v86, 0xbb9c, v170
	v_fmac_f16_e32 v170, 0x3b9c, v86
	v_fmac_f16_e32 v138, 0x34f2, v88
	v_sub_f16_e32 v132, v52, v50
	v_sub_f16_e32 v133, v77, v51
	v_add_f16_e32 v86, v89, v51
	v_fmac_f16_e32 v91, 0x38b4, v94
	v_fmac_f16_e32 v30, 0x34f2, v88
	v_fmamk_f16 v88, v94, 0xbb9c, v20
	v_fmac_f16_e32 v53, 0xb8b4, v94
	v_fmac_f16_e32 v20, 0x3b9c, v94
	v_add_f16_e32 v94, v134, v47
	v_sub_f16_e32 v73, v73, v74
	v_fmamk_f16 v185, v144, 0x3b9c, v45
	v_fmac_f16_e32 v45, 0xbb9c, v144
	v_fmac_f16_e32 v150, 0xb8b4, v144
	v_add_f16_e32 v89, v132, v133
	v_add_f16_e32 v86, v86, v77
	v_sub_f16_e32 v132, v50, v52
	v_sub_f16_e32 v133, v51, v77
	v_add_f16_e32 v135, v47, v48
	v_fmac_f16_e32 v88, 0x38b4, v93
	v_sub_f16_e32 v52, v52, v77
	v_fmac_f16_e32 v20, 0xb8b4, v93
	v_add_f16_e32 v77, v94, v48
	v_add_f16_e32 v93, v46, v49
	v_sub_f16_e32 v50, v50, v51
	v_sub_f16_e32 v51, v46, v47
	;; [unrolled: 1-line block ×5, first 2 shown]
	v_mov_b32_e32 v48, 55
	v_fmac_f16_e32 v139, 0x3b9c, v21
	v_add_f16_e32 v55, v55, v75
	v_fmamk_f16 v75, v157, 0x3b9c, v142
	v_add_f16_e32 v146, v146, v158
	v_fmamk_f16 v158, v73, 0xbb9c, v147
	v_fmac_f16_e32 v185, 0xb8b4, v21
	v_fmac_f16_e32 v45, 0x38b4, v21
	;; [unrolled: 1-line block ×3, first 2 shown]
	v_add_f16_e32 v132, v132, v133
	v_mul_u32_u24_sdwa v38, v38, v48 dst_sel:DWORD dst_unused:UNUSED_PAD src0_sel:WORD_0 src1_sel:DWORD
	v_fmamk_f16 v186, v159, 0xbb9c, v25
	v_fmac_f16_e32 v25, 0x3b9c, v159
	v_fmamk_f16 v187, v172, 0x3b9c, v41
	v_fmac_f16_e32 v41, 0xbb9c, v172
	v_fmac_f16_e32 v142, 0xbb9c, v157
	;; [unrolled: 1-line block ×4, first 2 shown]
	v_add_f16_e32 v82, v82, v83
	v_fmamk_f16 v83, v179, 0x3b9c, v151
	v_fmac_f16_e32 v75, 0x38b4, v159
	v_fmac_f16_e32 v158, 0xb8b4, v172
	;; [unrolled: 1-line block ×8, first 2 shown]
	v_add_lshl_u32 v132, v38, v39, 2
	v_pack_b32_f16 v38, v54, v72
	v_pack_b32_f16 v39, v71, v150
	v_fmamk_f16 v189, v180, 0xbb9c, v22
	v_fmac_f16_e32 v22, 0x3b9c, v180
	v_fmac_f16_e32 v186, 0x38b4, v157
	v_fmac_f16_e32 v25, 0xb8b4, v157
	v_fmac_f16_e32 v187, 0xb8b4, v73
	v_fmac_f16_e32 v41, 0x38b4, v73
	v_fmac_f16_e32 v151, 0xbb9c, v179
	v_fmac_f16_e32 v142, 0xb8b4, v159
	v_fmac_f16_e32 v147, 0x38b4, v172
	v_fmac_f16_e32 v139, 0x34f2, v140
	v_fmac_f16_e32 v23, -0.5, v171
	v_add_f16_e32 v21, v55, v74
	v_add_f16_e32 v55, v146, v160
	v_fmac_f16_e32 v83, 0x38b4, v180
	v_fmac_f16_e32 v166, 0xb8b4, v188
	;; [unrolled: 1-line block ×4, first 2 shown]
	v_mul_u32_u24_sdwa v36, v36, v48 dst_sel:DWORD dst_unused:UNUSED_PAD src0_sel:WORD_0 src1_sel:DWORD
	ds_write2_b32 v132, v38, v39 offset1:11
	v_pack_b32_f16 v38, v184, v185
	v_pack_b32_f16 v24, v24, v45
	v_add_f16_e32 v162, v162, v192
	v_fmac_f16_e32 v189, 0x38b4, v179
	v_fmac_f16_e32 v22, 0xb8b4, v179
	;; [unrolled: 1-line block ×8, first 2 shown]
	v_add_f16_e32 v73, v82, v84
	v_fmamk_f16 v82, v165, 0x3b9c, v163
	v_fmac_f16_e32 v142, 0x34f2, v143
	v_fmac_f16_e32 v147, 0x34f2, v148
	v_pack_b32_f16 v39, v92, v139
	v_add_f16_e32 v74, v155, v168
	v_fmamk_f16 v84, v167, 0xbb9c, v23
	v_fmac_f16_e32 v23, 0x3b9c, v167
	v_fmac_f16_e32 v83, 0x34f2, v153
	;; [unrolled: 1-line block ×3, first 2 shown]
	v_add_lshl_u32 v133, v36, v37, 2
	v_pack_b32_f16 v21, v21, v55
	v_pack_b32_f16 v36, v75, v158
	ds_write2_b32 v132, v38, v24 offset0:22 offset1:33
	v_mul_u32_u24_sdwa v24, v32, v48 dst_sel:DWORD dst_unused:UNUSED_PAD src0_sel:WORD_0 src1_sel:DWORD
	v_fmac_f16_e32 v163, 0xbb9c, v165
	v_fmac_f16_e32 v189, 0x34f2, v154
	;; [unrolled: 1-line block ×5, first 2 shown]
	v_pack_b32_f16 v37, v186, v187
	v_pack_b32_f16 v25, v25, v41
	v_fmac_f16_e32 v151, 0x34f2, v153
	v_fmac_f16_e32 v156, 0x34f2, v161
	v_add_f16_e32 v171, v178, v181
	v_fmac_f16_e32 v82, 0x38b4, v167
	v_add_f16_e32 v87, v87, v136
	v_fmac_f16_e32 v90, 0xb8b4, v177
	v_fma_f16 v136, -0.5, v135, v31
	v_fmac_f16_e32 v31, -0.5, v93
	ds_write_b32 v132, v39 offset:176
	ds_write2_b32 v133, v21, v36 offset1:11
	ds_write2_b32 v133, v37, v25 offset0:22 offset1:33
	v_pack_b32_f16 v21, v142, v147
	v_add_f16_e32 v169, v173, v174
	v_fmac_f16_e32 v84, 0x38b4, v165
	v_fmac_f16_e32 v23, 0xb8b4, v165
	v_add_lshl_u32 v135, v24, v35, 2
	v_pack_b32_f16 v24, v73, v74
	v_pack_b32_f16 v25, v83, v166
	v_fmac_f16_e32 v163, 0xb8b4, v167
	v_fmac_f16_e32 v170, 0x38b4, v177
	v_pack_b32_f16 v32, v189, v190
	v_pack_b32_f16 v22, v22, v40
	;; [unrolled: 1-line block ×3, first 2 shown]
	v_fmac_f16_e32 v82, 0x34f2, v164
	v_fmac_f16_e32 v90, 0x34f2, v171
	;; [unrolled: 1-line block ×4, first 2 shown]
	v_fmamk_f16 v89, v52, 0xbb9c, v136
	v_fmamk_f16 v93, v50, 0x3b9c, v31
	v_fmac_f16_e32 v31, 0xbb9c, v50
	v_mul_u32_u24_sdwa v34, v34, v48 dst_sel:DWORD dst_unused:UNUSED_PAD src0_sel:WORD_0 src1_sel:DWORD
	ds_write_b32 v133, v21 offset:176
	ds_write2_b32 v135, v24, v25 offset1:11
	ds_write2_b32 v135, v32, v22 offset0:22 offset1:33
	ds_write_b32 v135, v35 offset:176
	v_mov_b32_e32 v24, 0x29e5
	v_fmac_f16_e32 v84, 0x34f2, v169
	v_fmac_f16_e32 v23, 0x34f2, v169
	;; [unrolled: 1-line block ×5, first 2 shown]
	v_add_f16_e32 v51, v51, v94
	v_fmac_f16_e32 v93, 0xb8b4, v52
	v_add_f16_e32 v46, v46, v47
	v_fmac_f16_e32 v31, 0x38b4, v52
	v_add_lshl_u32 v134, v34, v33, 2
	v_pack_b32_f16 v21, v76, v87
	v_pack_b32_f16 v22, v82, v90
	v_mul_u32_u24_sdwa v24, v67, v24 dst_sel:DWORD dst_unused:UNUSED_PAD src0_sel:WORD_0 src1_sel:DWORD
	v_pack_b32_f16 v25, v84, v138
	v_pack_b32_f16 v23, v23, v30
	;; [unrolled: 1-line block ×3, first 2 shown]
	v_add_f16_e32 v77, v77, v49
	v_fmac_f16_e32 v89, 0x34f2, v51
	v_fmac_f16_e32 v93, 0x34f2, v46
	;; [unrolled: 1-line block ×3, first 2 shown]
	ds_write2_b32 v134, v21, v22 offset1:11
	ds_write2_b32 v134, v25, v23 offset0:22 offset1:33
	ds_write_b32 v134, v30 offset:176
	v_lshrrev_b32_e32 v21, 16, v24
	v_lshlrev_b32_sdwa v139, v42, v27 dst_sel:DWORD dst_unused:UNUSED_PAD src0_sel:DWORD src1_sel:WORD_0
	v_pack_b32_f16 v22, v86, v77
	v_pack_b32_f16 v23, v91, v89
	;; [unrolled: 1-line block ×4, first 2 shown]
	v_sub_nc_u16 v25, v67, v21
	v_fmac_f16_e32 v136, 0x3b9c, v52
	ds_write2_b32 v139, v22, v23 offset1:11
	v_mul_lo_u16 v22, 0x95, v26
	ds_write2_b32 v139, v24, v20 offset0:22 offset1:33
	v_lshrrev_b16 v20, 1, v25
	v_fmac_f16_e32 v136, 0x38b4, v50
	v_lshlrev_b32_e32 v45, 4, v115
	v_lshrrev_b16 v22, 13, v22
	v_add_nc_u16 v20, v20, v21
	v_fmac_f16_e32 v136, 0x34f2, v51
	v_mul_lo_u16 v21, v22, 55
	v_mul_lo_u16 v22, 0x95, v28
	v_lshrrev_b16 v20, 5, v20
	v_pack_b32_f16 v27, v53, v136
	v_sub_nc_u16 v48, v44, v21
	v_lshrrev_b16 v22, 13, v22
	v_mul_lo_u16 v20, v20, 55
	v_mov_b32_e32 v21, 4
	ds_write_b32 v139, v27 offset:176
	s_waitcnt lgkmcnt(0)
	v_mul_lo_u16 v22, v22, 55
	v_sub_nc_u16 v46, v67, v20
	v_lshlrev_b32_sdwa v20, v21, v48 dst_sel:DWORD dst_unused:UNUSED_PAD src0_sel:DWORD src1_sel:BYTE_0
	s_barrier
	buffer_gl0_inv
	v_sub_nc_u16 v47, v70, v22
	v_lshlrev_b16 v22, 4, v46
	s_clause 0x1
	global_load_dwordx4 v[36:39], v45, s[0:1] offset:176
	global_load_dwordx4 v[32:35], v20, s[0:1] offset:176
	v_lshlrev_b32_sdwa v20, v21, v47 dst_sel:DWORD dst_unused:UNUSED_PAD src0_sel:DWORD src1_sel:BYTE_0
	v_and_b32_e32 v21, 0xffff, v22
	global_load_dwordx4 v[24:27], v20, s[0:1] offset:176
	v_add_co_u32 v20, s2, s0, v21
	v_add_co_ci_u32_e64 v21, null, s1, 0, s2
	s_add_u32 s2, s6, 0x157c
	s_addc_u32 s3, s7, 0
	global_load_dwordx4 v[20:23], v[20:21], off offset:176
	ds_read2_b32 v[40:41], v95 offset1:55
	ds_read2_b32 v[28:29], v79 offset0:92 offset1:147
	ds_read2_b32 v[73:74], v78 offset0:38 offset1:93
	;; [unrolled: 1-line block ×11, first 2 shown]
	ds_read_b32 v77, v95 offset:5280
	s_waitcnt vmcnt(0) lgkmcnt(0)
	s_barrier
	buffer_gl0_inv
	v_lshrrev_b32_e32 v53, 16, v40
	v_lshrrev_b32_e32 v84, 16, v29
	;; [unrolled: 1-line block ×25, first 2 shown]
	v_mul_f16_sdwa v159, v84, v36 dst_sel:DWORD dst_unused:UNUSED_PAD src0_sel:DWORD src1_sel:WORD_1
	v_mul_f16_sdwa v160, v29, v36 dst_sel:DWORD dst_unused:UNUSED_PAD src0_sel:DWORD src1_sel:WORD_1
	;; [unrolled: 1-line block ×10, first 2 shown]
	v_fma_f16 v159, v29, v36, -v159
	v_fmac_f16_e32 v160, v84, v36
	v_fma_f16 v84, v73, v37, -v161
	v_fma_f16 v76, v76, v38, -v163
	;; [unrolled: 1-line block ×3, first 2 shown]
	v_mul_f16_sdwa v167, v143, v36 dst_sel:DWORD dst_unused:UNUSED_PAD src0_sel:DWORD src1_sel:WORD_1
	v_mul_f16_sdwa v191, v155, v20 dst_sel:DWORD dst_unused:UNUSED_PAD src0_sel:DWORD src1_sel:WORD_1
	;; [unrolled: 1-line block ×14, first 2 shown]
	v_fmac_f16_e32 v162, v94, v37
	v_fmac_f16_e32 v164, v138, v38
	;; [unrolled: 1-line block ×3, first 2 shown]
	v_fma_f16 v94, v74, v37, -v169
	v_fmac_f16_e32 v170, v144, v37
	v_fma_f16 v74, v137, v20, -v191
	v_fma_f16 v29, v75, v21, -v192
	;; [unrolled: 1-line block ×3, first 2 shown]
	v_add_f16_e32 v77, v40, v159
	v_add_f16_e32 v137, v84, v76
	;; [unrolled: 1-line block ×3, first 2 shown]
	v_mul_f16_sdwa v173, v146, v39 dst_sel:DWORD dst_unused:UNUSED_PAD src0_sel:DWORD src1_sel:WORD_1
	v_mul_f16_sdwa v176, v87, v32 dst_sel:DWORD dst_unused:UNUSED_PAD src0_sel:DWORD src1_sel:WORD_1
	;; [unrolled: 1-line block ×8, first 2 shown]
	v_fma_f16 v86, v86, v36, -v167
	v_fmac_f16_e32 v168, v143, v36
	v_fma_f16 v88, v88, v38, -v171
	v_fmac_f16_e32 v172, v145, v38
	v_fmac_f16_e32 v174, v146, v39
	;; [unrolled: 1-line block ×5, first 2 shown]
	v_fma_f16 v73, v141, v22, -v193
	v_sub_f16_e32 v141, v162, v164
	v_sub_f16_e32 v142, v159, v84
	;; [unrolled: 1-line block ×8, first 2 shown]
	v_add_f16_e32 v77, v77, v84
	v_fma_f16 v84, -0.5, v137, v40
	v_fma_f16 v40, -0.5, v144, v40
	v_mul_f16_sdwa v175, v147, v32 dst_sel:DWORD dst_unused:UNUSED_PAD src0_sel:DWORD src1_sel:WORD_1
	v_mul_f16_sdwa v177, v148, v33 dst_sel:DWORD dst_unused:UNUSED_PAD src0_sel:DWORD src1_sel:WORD_1
	;; [unrolled: 1-line block ×5, first 2 shown]
	v_fmac_f16_e32 v176, v147, v32
	v_fmac_f16_e32 v178, v148, v33
	v_fma_f16 v138, v140, v26, -v187
	v_fmac_f16_e32 v188, v153, v26
	v_fmac_f16_e32 v71, v156, v21
	;; [unrolled: 1-line block ×3, first 2 shown]
	v_sub_f16_e32 v140, v160, v166
	v_add_f16_e32 v147, v53, v160
	v_add_f16_e32 v148, v162, v164
	;; [unrolled: 1-line block ×8, first 2 shown]
	v_fmamk_f16 v155, v141, 0xbb9c, v40
	v_fmac_f16_e32 v40, 0x3b9c, v141
	v_mul_f16_sdwa v183, v151, v24 dst_sel:DWORD dst_unused:UNUSED_PAD src0_sel:DWORD src1_sel:WORD_1
	v_mul_f16_sdwa v186, v91, v25 dst_sel:DWORD dst_unused:UNUSED_PAD src0_sel:DWORD src1_sel:WORD_1
	v_fma_f16 v83, v83, v39, -v173
	v_fma_f16 v90, v90, v33, -v177
	;; [unrolled: 1-line block ×3, first 2 shown]
	v_fmac_f16_e32 v180, v149, v34
	v_fmac_f16_e32 v184, v151, v24
	;; [unrolled: 1-line block ×3, first 2 shown]
	v_sub_f16_e32 v149, v159, v82
	v_sub_f16_e32 v151, v160, v162
	;; [unrolled: 1-line block ×5, first 2 shown]
	v_add_f16_e32 v171, v170, v172
	v_sub_f16_e32 v173, v94, v88
	v_add_f16_e32 v179, v168, v174
	v_add_f16_e32 v143, v147, v162
	v_fma_f16 v144, -0.5, v148, v53
	v_fmac_f16_e32 v53, -0.5, v153
	v_add_f16_e32 v94, v156, v94
	v_fma_f16 v147, -0.5, v157, v41
	v_add_f16_e32 v76, v77, v76
	v_fmamk_f16 v77, v140, 0x3b9c, v84
	v_fmac_f16_e32 v84, 0xbb9c, v140
	v_fmac_f16_e32 v155, 0x38b4, v140
	v_fmac_f16_e32 v40, 0xb8b4, v140
	v_mul_f16_sdwa v185, v152, v25 dst_sel:DWORD dst_unused:UNUSED_PAD src0_sel:DWORD src1_sel:WORD_1
	v_fma_f16 v87, v87, v32, -v175
	v_fma_f16 v92, v92, v35, -v181
	v_fmac_f16_e32 v186, v152, v25
	v_sub_f16_e32 v152, v166, v164
	v_sub_f16_e32 v159, v170, v172
	;; [unrolled: 1-line block ×3, first 2 shown]
	v_add_f16_e32 v163, v86, v83
	v_sub_f16_e32 v167, v88, v83
	v_add_f16_e32 v169, v52, v168
	v_fma_f16 v153, -0.5, v171, v52
	v_fmac_f16_e32 v52, -0.5, v179
	v_add_f16_e32 v143, v143, v164
	v_fmamk_f16 v156, v149, 0xbb9c, v144
	v_fmac_f16_e32 v144, 0x3b9c, v149
	v_fmamk_f16 v157, v150, 0x3b9c, v53
	v_fmac_f16_e32 v53, 0xbb9c, v150
	v_add_f16_e32 v88, v94, v88
	v_fmamk_f16 v94, v158, 0x3b9c, v147
	v_fmac_f16_e32 v147, 0xbb9c, v158
	v_fmac_f16_e32 v77, 0x38b4, v141
	;; [unrolled: 1-line block ×5, first 2 shown]
	v_sub_f16_e32 v140, v170, v168
	v_sub_f16_e32 v141, v172, v174
	v_add_f16_e32 v142, v90, v89
	v_sub_f16_e32 v86, v86, v83
	v_add_f16_e32 v145, v151, v152
	v_add_f16_e32 v148, v160, v161
	v_fmac_f16_e32 v41, -0.5, v163
	v_add_f16_e32 v76, v76, v82
	v_add_f16_e32 v82, v143, v166
	v_fmac_f16_e32 v156, 0xb8b4, v150
	v_fmac_f16_e32 v144, 0x38b4, v150
	v_fmac_f16_e32 v157, 0xb8b4, v149
	v_fmac_f16_e32 v53, 0x38b4, v149
	v_fmac_f16_e32 v94, 0x38b4, v159
	v_fmac_f16_e32 v147, 0xb8b4, v159
	v_fmac_f16_e32 v77, 0x34f2, v137
	v_fmac_f16_e32 v84, 0x34f2, v137
	v_fmamk_f16 v137, v173, 0x3b9c, v52
	v_add_f16_e32 v140, v140, v141
	v_add_f16_e32 v141, v30, v87
	v_fma_f16 v142, -0.5, v142, v30
	v_sub_f16_e32 v143, v176, v182
	v_fmac_f16_e32 v52, 0xbb9c, v173
	v_add_f16_e32 v150, v87, v92
	v_fmamk_f16 v160, v159, 0xbb9c, v41
	v_fmac_f16_e32 v41, 0x3b9c, v159
	v_fmac_f16_e32 v156, 0x34f2, v145
	v_fmac_f16_e32 v144, 0x34f2, v145
	v_fmac_f16_e32 v157, 0x34f2, v146
	v_fmac_f16_e32 v53, 0x34f2, v146
	v_fmac_f16_e32 v94, 0x34f2, v148
	v_fmac_f16_e32 v147, 0x34f2, v148
	v_fmac_f16_e32 v137, 0xb8b4, v86
	v_add_f16_e32 v141, v141, v90
	v_fmamk_f16 v145, v143, 0x3b9c, v142
	v_sub_f16_e32 v146, v178, v180
	v_sub_f16_e32 v148, v87, v90
	;; [unrolled: 1-line block ×3, first 2 shown]
	v_fmac_f16_e32 v52, 0x38b4, v86
	v_fma_f16 v30, -0.5, v150, v30
	v_fmac_f16_e32 v142, 0xbb9c, v143
	v_add_f16_e32 v150, v51, v176
	v_add_f16_e32 v151, v165, v167
	v_fmamk_f16 v161, v86, 0xbb9c, v153
	v_fmac_f16_e32 v160, 0x38b4, v158
	v_fmac_f16_e32 v41, 0xb8b4, v158
	v_fmac_f16_e32 v153, 0x3b9c, v86
	v_fmac_f16_e32 v137, 0x34f2, v140
	v_add_f16_e32 v86, v141, v89
	v_fmac_f16_e32 v145, 0x38b4, v146
	v_add_f16_e32 v141, v148, v149
	v_fmac_f16_e32 v52, 0x34f2, v140
	v_fmamk_f16 v140, v146, 0xbb9c, v30
	v_sub_f16_e32 v148, v90, v87
	v_sub_f16_e32 v149, v89, v92
	v_fmac_f16_e32 v142, 0xb8b4, v146
	v_fmac_f16_e32 v30, 0x3b9c, v146
	v_add_f16_e32 v146, v150, v178
	v_fmac_f16_e32 v160, 0x34f2, v151
	v_fmac_f16_e32 v41, 0x34f2, v151
	v_add_f16_e32 v86, v86, v92
	v_add_f16_e32 v151, v178, v180
	v_fmac_f16_e32 v140, 0x38b4, v143
	v_add_f16_e32 v148, v148, v149
	v_sub_f16_e32 v87, v87, v92
	v_fmac_f16_e32 v30, 0xb8b4, v143
	v_add_f16_e32 v92, v146, v180
	v_add_f16_e32 v143, v176, v182
	v_sub_f16_e32 v89, v90, v89
	v_sub_f16_e32 v90, v176, v178
	;; [unrolled: 1-line block ×3, first 2 shown]
	v_fma_f16 v136, v136, v24, -v183
	v_fma_f16 v91, v91, v25, -v185
	;; [unrolled: 1-line block ×3, first 2 shown]
	v_sub_f16_e32 v175, v168, v170
	v_sub_f16_e32 v177, v174, v172
	v_add_f16_e32 v152, v169, v170
	v_fma_f16 v149, -0.5, v151, v51
	v_fmac_f16_e32 v140, 0x34f2, v148
	v_fmac_f16_e32 v30, 0x34f2, v148
	v_fmac_f16_e32 v51, -0.5, v143
	v_add_f16_e32 v90, v90, v146
	v_sub_f16_e32 v146, v178, v176
	v_sub_f16_e32 v148, v180, v182
	v_add_f16_e32 v154, v175, v177
	v_add_f16_e32 v152, v152, v172
	v_fmac_f16_e32 v161, 0xb8b4, v173
	v_fmac_f16_e32 v153, 0x38b4, v173
	;; [unrolled: 1-line block ×4, first 2 shown]
	v_fmamk_f16 v141, v87, 0xbb9c, v149
	v_fmac_f16_e32 v149, 0x3b9c, v87
	v_fmamk_f16 v143, v89, 0x3b9c, v51
	v_add_f16_e32 v150, v91, v138
	v_add_f16_e32 v146, v146, v148
	;; [unrolled: 1-line block ×3, first 2 shown]
	v_fmac_f16_e32 v51, 0xbb9c, v89
	v_add_f16_e32 v158, v136, v93
	v_add_f16_e32 v83, v88, v83
	;; [unrolled: 1-line block ×3, first 2 shown]
	v_fmac_f16_e32 v161, 0x34f2, v154
	v_fmac_f16_e32 v153, 0x34f2, v154
	;; [unrolled: 1-line block ×5, first 2 shown]
	v_fma_f16 v150, -0.5, v150, v31
	v_sub_f16_e32 v151, v184, v190
	v_add_f16_e32 v89, v148, v91
	v_sub_f16_e32 v148, v186, v188
	v_sub_f16_e32 v152, v136, v91
	;; [unrolled: 1-line block ×3, first 2 shown]
	v_fmac_f16_e32 v51, 0x38b4, v87
	v_fmac_f16_e32 v31, -0.5, v158
	v_fmac_f16_e32 v141, 0x34f2, v90
	v_fmac_f16_e32 v149, 0x34f2, v90
	;; [unrolled: 1-line block ×3, first 2 shown]
	v_fmamk_f16 v90, v151, 0x3b9c, v150
	v_add_f16_e32 v87, v89, v138
	v_add_f16_e32 v89, v152, v154
	v_fmac_f16_e32 v51, 0x34f2, v146
	v_fmac_f16_e32 v150, 0xbb9c, v151
	v_fmamk_f16 v146, v148, 0xbb9c, v31
	v_sub_f16_e32 v152, v91, v136
	v_sub_f16_e32 v154, v138, v93
	v_add_f16_e32 v158, v50, v184
	v_add_f16_e32 v159, v186, v188
	v_fmac_f16_e32 v31, 0x3b9c, v148
	v_fmac_f16_e32 v90, 0x38b4, v148
	v_add_f16_e32 v87, v87, v93
	v_fmac_f16_e32 v150, 0xb8b4, v148
	v_fmac_f16_e32 v146, 0x38b4, v151
	v_add_f16_e32 v152, v152, v154
	v_add_f16_e32 v148, v158, v186
	v_fma_f16 v154, -0.5, v159, v50
	v_sub_f16_e32 v93, v136, v93
	v_fmac_f16_e32 v31, 0xb8b4, v151
	v_add_f16_e32 v136, v184, v190
	v_sub_f16_e32 v91, v91, v138
	v_sub_f16_e32 v138, v184, v186
	v_sub_f16_e32 v151, v190, v188
	v_fmac_f16_e32 v90, 0x34f2, v89
	v_fmac_f16_e32 v150, 0x34f2, v89
	;; [unrolled: 1-line block ×3, first 2 shown]
	v_add_f16_e32 v89, v148, v188
	v_fmamk_f16 v148, v93, 0xbb9c, v154
	v_fmac_f16_e32 v31, 0x34f2, v152
	v_fmac_f16_e32 v50, -0.5, v136
	v_add_f16_e32 v136, v138, v151
	v_fmac_f16_e32 v154, 0x3b9c, v93
	v_sub_f16_e32 v151, v186, v184
	v_sub_f16_e32 v152, v188, v190
	v_add_f16_e32 v158, v29, v73
	v_fmac_f16_e32 v148, 0xb8b4, v91
	v_fmamk_f16 v138, v91, 0x3b9c, v50
	v_fmac_f16_e32 v154, 0x38b4, v91
	v_add_f16_e32 v151, v151, v152
	v_fmac_f16_e32 v50, 0xbb9c, v91
	v_add_f16_e32 v91, v28, v74
	v_fma_f16 v152, -0.5, v158, v28
	v_sub_f16_e32 v158, v54, v55
	v_fmac_f16_e32 v148, 0x34f2, v136
	v_fmac_f16_e32 v138, 0xb8b4, v93
	;; [unrolled: 1-line block ×4, first 2 shown]
	v_add_f16_e32 v91, v91, v29
	v_fmamk_f16 v93, v158, 0x3b9c, v152
	v_sub_f16_e32 v136, v71, v72
	v_sub_f16_e32 v159, v74, v29
	;; [unrolled: 1-line block ×3, first 2 shown]
	v_fmac_f16_e32 v152, 0xbb9c, v158
	v_add_f16_e32 v163, v74, v75
	v_add_f16_e32 v91, v91, v73
	v_fmac_f16_e32 v93, 0x38b4, v136
	v_add_f16_e32 v159, v159, v162
	v_fmac_f16_e32 v152, 0xb8b4, v136
	v_fmac_f16_e32 v28, -0.5, v163
	v_sub_f16_e32 v162, v29, v74
	v_sub_f16_e32 v163, v73, v75
	v_fmac_f16_e32 v138, 0x34f2, v151
	v_fmac_f16_e32 v50, 0x34f2, v151
	v_add_f16_e32 v91, v91, v75
	v_fmac_f16_e32 v93, 0x34f2, v159
	v_fmac_f16_e32 v152, 0x34f2, v159
	v_fmamk_f16 v151, v136, 0xbb9c, v28
	v_add_f16_e32 v159, v71, v72
	v_fmac_f16_e32 v28, 0x3b9c, v136
	v_sub_f16_e32 v74, v74, v75
	v_add_f16_e32 v75, v162, v163
	v_add_f16_e32 v162, v54, v55
	;; [unrolled: 1-line block ×3, first 2 shown]
	v_fma_f16 v159, -0.5, v159, v49
	v_fmac_f16_e32 v151, 0x38b4, v158
	v_fmac_f16_e32 v28, 0xb8b4, v158
	v_sub_f16_e32 v29, v29, v73
	v_fmac_f16_e32 v49, -0.5, v162
	v_add_f16_e32 v136, v136, v71
	v_fmamk_f16 v158, v74, 0xbb9c, v159
	v_fmac_f16_e32 v151, 0x34f2, v75
	v_fmac_f16_e32 v28, 0x34f2, v75
	v_sub_f16_e32 v75, v54, v71
	v_fmac_f16_e32 v159, 0x3b9c, v74
	v_fmamk_f16 v162, v29, 0x3b9c, v49
	v_sub_f16_e32 v54, v71, v54
	v_sub_f16_e32 v71, v72, v55
	v_fmac_f16_e32 v49, 0xbb9c, v29
	v_add_f16_e32 v73, v136, v72
	v_sub_f16_e32 v136, v55, v72
	v_fmac_f16_e32 v158, 0xb8b4, v29
	v_fmac_f16_e32 v159, 0x38b4, v29
	;; [unrolled: 1-line block ×3, first 2 shown]
	v_add_f16_e32 v29, v54, v71
	v_fmac_f16_e32 v49, 0x38b4, v74
	v_add_f16_e32 v72, v75, v136
	v_add_f16_e32 v54, v73, v55
	v_pack_b32_f16 v55, v77, v156
	v_fmac_f16_e32 v162, 0x34f2, v29
	v_fmac_f16_e32 v49, 0x34f2, v29
	v_pack_b32_f16 v29, v76, v82
	v_add_f16_e32 v92, v92, v182
	v_pack_b32_f16 v71, v155, v157
	v_pack_b32_f16 v40, v40, v53
	;; [unrolled: 1-line block ×3, first 2 shown]
	v_lshlrev_b32_sdwa v137, v42, v48 dst_sel:DWORD dst_unused:UNUSED_PAD src0_sel:DWORD src1_sel:BYTE_0
	v_fmac_f16_e32 v158, 0x34f2, v72
	v_fmac_f16_e32 v159, 0x34f2, v72
	v_pack_b32_f16 v53, v84, v144
	v_pack_b32_f16 v72, v83, v88
	;; [unrolled: 1-line block ×3, first 2 shown]
	v_add_f16_e32 v89, v89, v190
	v_lshlrev_b32_sdwa v136, v42, v47 dst_sel:DWORD dst_unused:UNUSED_PAD src0_sel:DWORD src1_sel:BYTE_0
	ds_write2_b32 v95, v29, v55 offset1:55
	ds_write2_b32 v95, v71, v40 offset0:110 offset1:165
	ds_write2_b32 v79, v53, v72 offset0:92 offset1:147
	ds_write2_b32 v80, v73, v74 offset0:74 offset1:129
	v_pack_b32_f16 v29, v41, v52
	v_pack_b32_f16 v40, v147, v153
	;; [unrolled: 1-line block ×4, first 2 shown]
	v_add_nc_u32_e32 v52, 0x800, v137
	v_pack_b32_f16 v53, v140, v143
	v_pack_b32_f16 v30, v30, v51
	;; [unrolled: 1-line block ×5, first 2 shown]
	v_add_nc_u32_e32 v71, 0xc00, v136
	ds_write2_b32 v80, v29, v40 offset0:184 offset1:239
	ds_write2_b32 v52, v41, v48 offset0:38 offset1:93
	;; [unrolled: 1-line block ×3, first 2 shown]
	ds_write_b32 v137, v47 offset:3080
	ds_write2_b32 v71, v51, v55 offset0:57 offset1:112
	v_pack_b32_f16 v29, v146, v138
	v_lshlrev_b32_sdwa v138, v42, v46 dst_sel:DWORD dst_unused:UNUSED_PAD src0_sel:DWORD src1_sel:WORD_0
	v_pack_b32_f16 v30, v31, v50
	v_pack_b32_f16 v31, v150, v154
	;; [unrolled: 1-line block ×4, first 2 shown]
	v_add_nc_u32_e32 v42, 0x1000, v138
	v_pack_b32_f16 v46, v151, v162
	v_pack_b32_f16 v28, v28, v49
	;; [unrolled: 1-line block ×3, first 2 shown]
	ds_write2_b32 v71, v29, v30 offset0:167 offset1:222
	ds_write_b32 v136, v31 offset:4180
	ds_write2_b32 v42, v40, v41 offset0:76 offset1:131
	ds_write2_b32 v42, v46, v28 offset0:186 offset1:241
	ds_write_b32 v138, v47 offset:5280
	v_lshlrev_b32_e32 v28, 4, v43
	s_waitcnt lgkmcnt(0)
	s_barrier
	buffer_gl0_inv
	s_clause 0x1
	global_load_dwordx4 v[48:51], v45, s[0:1] offset:1056
	global_load_dwordx4 v[52:55], v28, s[0:1] offset:1056
	v_lshlrev_b32_e32 v28, 4, v44
	global_load_dwordx4 v[44:47], v28, s[0:1] offset:1056
	v_lshlrev_b32_e32 v28, 4, v70
	;; [unrolled: 2-line block ×3, first 2 shown]
	global_load_dwordx4 v[28:31], v28, s[0:1] offset:1056
	ds_read2_b32 v[74:75], v95 offset1:55
	ds_read2_b32 v[70:71], v79 offset0:92 offset1:147
	ds_read2_b32 v[86:87], v78 offset0:38 offset1:93
	;; [unrolled: 1-line block ×11, first 2 shown]
	ds_read_b32 v67, v95 offset:5280
	s_waitcnt lgkmcnt(12)
	v_lshrrev_b32_e32 v83, 16, v74
	s_waitcnt lgkmcnt(11)
	v_lshrrev_b32_e32 v84, 16, v71
	;; [unrolled: 2-line block ×6, first 2 shown]
	v_lshrrev_b32_e32 v154, 16, v87
	v_lshrrev_b32_e32 v156, 16, v91
	;; [unrolled: 1-line block ×3, first 2 shown]
	s_waitcnt lgkmcnt(3)
	v_lshrrev_b32_e32 v164, 16, v146
	s_waitcnt lgkmcnt(2)
	v_lshrrev_b32_e32 v165, 16, v148
	v_lshrrev_b32_e32 v155, 16, v141
	;; [unrolled: 1-line block ×5, first 2 shown]
	s_waitcnt lgkmcnt(1)
	v_lshrrev_b32_e32 v163, 16, v149
	v_lshrrev_b32_e32 v167, 16, v150
	s_waitcnt lgkmcnt(0)
	v_lshrrev_b32_e32 v168, 16, v67
	v_lshrrev_b32_e32 v159, 16, v142
	;; [unrolled: 1-line block ×8, first 2 shown]
	s_waitcnt vmcnt(4)
	v_mul_f16_sdwa v169, v84, v48 dst_sel:DWORD dst_unused:UNUSED_PAD src0_sel:DWORD src1_sel:WORD_1
	v_mul_f16_sdwa v170, v71, v48 dst_sel:DWORD dst_unused:UNUSED_PAD src0_sel:DWORD src1_sel:WORD_1
	;; [unrolled: 1-line block ×7, first 2 shown]
	s_waitcnt vmcnt(3)
	v_mul_f16_sdwa v177, v153, v52 dst_sel:DWORD dst_unused:UNUSED_PAD src0_sel:DWORD src1_sel:WORD_1
	v_mul_f16_sdwa v178, v92, v52 dst_sel:DWORD dst_unused:UNUSED_PAD src0_sel:DWORD src1_sel:WORD_1
	;; [unrolled: 1-line block ×3, first 2 shown]
	v_fma_f16 v71, v71, v48, -v169
	v_mul_f16_sdwa v172, v86, v49 dst_sel:DWORD dst_unused:UNUSED_PAD src0_sel:DWORD src1_sel:WORD_1
	v_mul_f16_sdwa v180, v87, v53 dst_sel:DWORD dst_unused:UNUSED_PAD src0_sel:DWORD src1_sel:WORD_1
	;; [unrolled: 1-line block ×4, first 2 shown]
	s_waitcnt vmcnt(2)
	v_mul_f16_sdwa v188, v143, v45 dst_sel:DWORD dst_unused:UNUSED_PAD src0_sel:DWORD src1_sel:WORD_1
	s_waitcnt vmcnt(1)
	v_mul_f16_sdwa v194, v147, v40 dst_sel:DWORD dst_unused:UNUSED_PAD src0_sel:DWORD src1_sel:WORD_1
	v_fma_f16 v169, v86, v49, -v171
	v_fma_f16 v171, v89, v50, -v173
	v_fmac_f16_e32 v174, v151, v50
	v_fma_f16 v151, v90, v51, -v175
	v_fmac_f16_e32 v176, v152, v51
	;; [unrolled: 2-line block ×3, first 2 shown]
	v_fma_f16 v153, v87, v53, -v179
	v_mul_f16_sdwa v86, v164, v43 dst_sel:DWORD dst_unused:UNUSED_PAD src0_sel:DWORD src1_sel:WORD_1
	s_waitcnt vmcnt(0)
	v_mul_f16_sdwa v87, v165, v28 dst_sel:DWORD dst_unused:UNUSED_PAD src0_sel:DWORD src1_sel:WORD_1
	v_mul_f16_sdwa v89, v166, v29 dst_sel:DWORD dst_unused:UNUSED_PAD src0_sel:DWORD src1_sel:WORD_1
	v_add_f16_e32 v92, v74, v71
	v_mul_f16_sdwa v181, v155, v54 dst_sel:DWORD dst_unused:UNUSED_PAD src0_sel:DWORD src1_sel:WORD_1
	v_mul_f16_sdwa v184, v91, v55 dst_sel:DWORD dst_unused:UNUSED_PAD src0_sel:DWORD src1_sel:WORD_1
	;; [unrolled: 1-line block ×8, first 2 shown]
	v_fmac_f16_e32 v170, v84, v48
	v_fmac_f16_e32 v172, v94, v49
	;; [unrolled: 1-line block ×3, first 2 shown]
	v_fma_f16 v155, v91, v55, -v183
	v_fmac_f16_e32 v188, v158, v45
	v_fmac_f16_e32 v194, v161, v40
	v_mul_f16_sdwa v84, v163, v42 dst_sel:DWORD dst_unused:UNUSED_PAD src0_sel:DWORD src1_sel:WORD_1
	v_fma_f16 v158, v146, v43, -v86
	v_mul_f16_sdwa v86, v88, v29 dst_sel:DWORD dst_unused:UNUSED_PAD src0_sel:DWORD src1_sel:WORD_1
	v_fma_f16 v94, v148, v28, -v87
	v_fma_f16 v89, v88, v29, -v89
	v_add_f16_e32 v87, v169, v171
	v_mul_f16_sdwa v88, v167, v30 dst_sel:DWORD dst_unused:UNUSED_PAD src0_sel:DWORD src1_sel:WORD_1
	v_mul_f16_sdwa v91, v168, v31 dst_sel:DWORD dst_unused:UNUSED_PAD src0_sel:DWORD src1_sel:WORD_1
	v_add_f16_e32 v92, v92, v169
	v_add_f16_e32 v161, v71, v151
	v_mul_f16_sdwa v189, v159, v46 dst_sel:DWORD dst_unused:UNUSED_PAD src0_sel:DWORD src1_sel:WORD_1
	v_mul_f16_sdwa v191, v160, v47 dst_sel:DWORD dst_unused:UNUSED_PAD src0_sel:DWORD src1_sel:WORD_1
	;; [unrolled: 1-line block ×3, first 2 shown]
	v_fmac_f16_e32 v180, v154, v53
	v_fma_f16 v154, v141, v54, -v181
	v_fmac_f16_e32 v184, v156, v55
	v_fma_f16 v156, v93, v44, -v185
	v_fmac_f16_e32 v186, v157, v44
	v_fmac_f16_e32 v190, v159, v46
	;; [unrolled: 1-line block ×3, first 2 shown]
	v_mul_f16_sdwa v157, v149, v42 dst_sel:DWORD dst_unused:UNUSED_PAD src0_sel:DWORD src1_sel:WORD_1
	v_fma_f16 v149, v149, v42, -v84
	v_mul_f16_sdwa v84, v148, v28 dst_sel:DWORD dst_unused:UNUSED_PAD src0_sel:DWORD src1_sel:WORD_1
	v_mul_f16_sdwa v90, v150, v30 dst_sel:DWORD dst_unused:UNUSED_PAD src0_sel:DWORD src1_sel:WORD_1
	v_fma_f16 v87, -0.5, v87, v74
	v_sub_f16_e32 v148, v170, v176
	v_fma_f16 v141, v150, v30, -v88
	v_fma_f16 v150, v67, v31, -v91
	v_sub_f16_e32 v159, v172, v174
	v_sub_f16_e32 v93, v71, v169
	;; [unrolled: 1-line block ×3, first 2 shown]
	v_mul_f16_sdwa v91, v67, v31 dst_sel:DWORD dst_unused:UNUSED_PAD src0_sel:DWORD src1_sel:WORD_1
	v_add_f16_e32 v67, v92, v171
	v_fma_f16 v74, -0.5, v161, v74
	v_mul_f16_sdwa v195, v162, v41 dst_sel:DWORD dst_unused:UNUSED_PAD src0_sel:DWORD src1_sel:WORD_1
	v_fmac_f16_e32 v196, v162, v41
	v_fmac_f16_e32 v157, v163, v42
	v_fmamk_f16 v88, v148, 0x3b9c, v87
	v_add_f16_e32 v160, v93, v160
	v_add_f16_e32 v92, v67, v151
	v_fmac_f16_e32 v87, 0xbb9c, v148
	v_fmamk_f16 v93, v159, 0xbb9c, v74
	v_sub_f16_e32 v67, v169, v71
	v_sub_f16_e32 v161, v171, v151
	v_add_f16_e32 v162, v83, v170
	v_add_f16_e32 v163, v172, v174
	v_fmac_f16_e32 v74, 0x3b9c, v159
	v_fmac_f16_e32 v88, 0x38b4, v159
	;; [unrolled: 1-line block ×4, first 2 shown]
	v_add_f16_e32 v67, v67, v161
	v_add_f16_e32 v159, v162, v172
	v_fma_f16 v161, -0.5, v163, v83
	v_sub_f16_e32 v71, v71, v151
	v_fmac_f16_e32 v74, 0xb8b4, v148
	v_sub_f16_e32 v162, v170, v172
	v_sub_f16_e32 v163, v176, v174
	v_mul_f16_sdwa v146, v146, v43 dst_sel:DWORD dst_unused:UNUSED_PAD src0_sel:DWORD src1_sel:WORD_1
	v_fmac_f16_e32 v88, 0x34f2, v160
	v_fmac_f16_e32 v87, 0x34f2, v160
	;; [unrolled: 1-line block ×3, first 2 shown]
	v_add_f16_e32 v148, v159, v174
	v_fmamk_f16 v151, v71, 0xbb9c, v161
	v_add_f16_e32 v159, v170, v176
	v_sub_f16_e32 v160, v169, v171
	v_fmac_f16_e32 v74, 0x34f2, v67
	v_add_f16_e32 v67, v162, v163
	v_fmac_f16_e32 v161, 0x3b9c, v71
	v_sub_f16_e32 v162, v172, v170
	v_sub_f16_e32 v163, v174, v176
	v_fmac_f16_e32 v146, v164, v43
	v_fmac_f16_e32 v83, -0.5, v159
	v_fmac_f16_e32 v151, 0xb8b4, v160
	v_add_f16_e32 v164, v153, v154
	v_fmac_f16_e32 v161, 0x38b4, v160
	v_add_f16_e32 v162, v162, v163
	v_add_f16_e32 v163, v75, v152
	v_fmac_f16_e32 v84, v165, v28
	v_fmac_f16_e32 v91, v168, v31
	v_fmamk_f16 v159, v160, 0x3b9c, v83
	v_fmac_f16_e32 v151, 0x34f2, v67
	v_fma_f16 v164, -0.5, v164, v75
	v_sub_f16_e32 v165, v178, v184
	v_fmac_f16_e32 v161, 0x34f2, v67
	v_fmac_f16_e32 v83, 0xbb9c, v160
	v_add_f16_e32 v67, v163, v153
	v_add_f16_e32 v168, v152, v155
	v_fmac_f16_e32 v86, v166, v29
	v_fmac_f16_e32 v90, v167, v30
	;; [unrolled: 1-line block ×3, first 2 shown]
	v_fmamk_f16 v160, v165, 0x3b9c, v164
	v_sub_f16_e32 v163, v180, v182
	v_sub_f16_e32 v166, v152, v153
	;; [unrolled: 1-line block ×3, first 2 shown]
	v_fmac_f16_e32 v83, 0x38b4, v71
	v_add_f16_e32 v67, v67, v154
	v_fmac_f16_e32 v75, -0.5, v168
	v_fmac_f16_e32 v164, 0xbb9c, v165
	v_add_f16_e32 v168, v82, v178
	v_fmac_f16_e32 v159, 0x34f2, v162
	v_fmac_f16_e32 v160, 0x38b4, v163
	v_add_f16_e32 v71, v166, v167
	v_fmac_f16_e32 v83, 0x34f2, v162
	v_add_f16_e32 v162, v67, v155
	v_fmamk_f16 v166, v163, 0xbb9c, v75
	v_sub_f16_e32 v67, v153, v152
	v_sub_f16_e32 v167, v154, v155
	v_fmac_f16_e32 v164, 0xb8b4, v163
	v_add_f16_e32 v169, v180, v182
	v_fmac_f16_e32 v75, 0x3b9c, v163
	v_add_f16_e32 v163, v168, v180
	v_fmac_f16_e32 v160, 0x34f2, v71
	v_fmac_f16_e32 v166, 0x38b4, v165
	v_add_f16_e32 v67, v67, v167
	v_fma_f16 v167, -0.5, v169, v82
	v_sub_f16_e32 v152, v152, v155
	v_fmac_f16_e32 v164, 0x34f2, v71
	v_fmac_f16_e32 v75, 0xb8b4, v165
	v_add_f16_e32 v71, v163, v182
	v_add_f16_e32 v163, v178, v184
	v_sub_f16_e32 v153, v153, v154
	v_sub_f16_e32 v154, v178, v180
	v_sub_f16_e32 v165, v184, v182
	v_fmac_f16_e32 v166, 0x34f2, v67
	v_fmamk_f16 v155, v152, 0xbb9c, v167
	v_fmac_f16_e32 v75, 0x34f2, v67
	v_fmac_f16_e32 v82, -0.5, v163
	v_add_f16_e32 v163, v71, v184
	v_add_f16_e32 v67, v154, v165
	v_fmac_f16_e32 v167, 0x3b9c, v152
	v_sub_f16_e32 v71, v180, v178
	v_sub_f16_e32 v165, v182, v184
	v_fma_f16 v143, v143, v45, -v187
	v_fmac_f16_e32 v155, 0xb8b4, v153
	v_fmac_f16_e32 v167, 0x38b4, v153
	v_fma_f16 v142, v142, v46, -v189
	v_add_f16_e32 v71, v71, v165
	v_add_f16_e32 v165, v72, v156
	v_fma_f16 v145, v145, v47, -v191
	v_fmamk_f16 v154, v153, 0x3b9c, v82
	v_fmac_f16_e32 v155, 0x34f2, v67
	v_fmac_f16_e32 v167, 0x34f2, v67
	;; [unrolled: 1-line block ×3, first 2 shown]
	v_add_f16_e32 v67, v165, v143
	v_add_f16_e32 v168, v143, v142
	v_fmac_f16_e32 v154, 0xb8b4, v152
	v_sub_f16_e32 v170, v156, v143
	v_sub_f16_e32 v171, v145, v142
	v_add_f16_e32 v172, v156, v145
	v_fmac_f16_e32 v82, 0x38b4, v152
	v_add_f16_e32 v67, v67, v142
	v_fma_f16 v168, -0.5, v168, v72
	v_sub_f16_e32 v169, v186, v192
	v_fmac_f16_e32 v154, 0x34f2, v71
	v_sub_f16_e32 v165, v188, v190
	v_add_f16_e32 v152, v170, v171
	v_fma_f16 v72, -0.5, v172, v72
	v_fmac_f16_e32 v82, 0x34f2, v71
	v_add_f16_e32 v170, v67, v145
	v_sub_f16_e32 v67, v143, v156
	v_sub_f16_e32 v71, v142, v145
	v_add_f16_e32 v172, v77, v186
	v_fmamk_f16 v153, v169, 0x3b9c, v168
	v_fmac_f16_e32 v168, 0xbb9c, v169
	v_fmamk_f16 v171, v165, 0xbb9c, v72
	v_add_f16_e32 v173, v188, v190
	v_add_f16_e32 v67, v67, v71
	v_fmac_f16_e32 v72, 0x3b9c, v165
	v_add_f16_e32 v71, v172, v188
	v_fmac_f16_e32 v153, 0x38b4, v165
	v_fmac_f16_e32 v168, 0xb8b4, v165
	;; [unrolled: 1-line block ×3, first 2 shown]
	v_fma_f16 v165, -0.5, v173, v77
	v_sub_f16_e32 v145, v156, v145
	v_fmac_f16_e32 v72, 0xb8b4, v169
	v_add_f16_e32 v71, v71, v190
	v_add_f16_e32 v156, v186, v192
	v_sub_f16_e32 v142, v143, v142
	v_sub_f16_e32 v143, v186, v188
	;; [unrolled: 1-line block ×3, first 2 shown]
	v_fma_f16 v147, v147, v40, -v193
	v_fmac_f16_e32 v153, 0x34f2, v152
	v_fmac_f16_e32 v168, 0x34f2, v152
	;; [unrolled: 1-line block ×3, first 2 shown]
	v_fmamk_f16 v152, v145, 0xbb9c, v165
	v_fmac_f16_e32 v72, 0x34f2, v67
	v_fmac_f16_e32 v77, -0.5, v156
	v_add_f16_e32 v156, v71, v192
	v_add_f16_e32 v67, v143, v169
	v_fmac_f16_e32 v165, 0x3b9c, v145
	v_sub_f16_e32 v71, v188, v186
	v_sub_f16_e32 v169, v190, v192
	v_fma_f16 v144, v144, v41, -v195
	v_fmac_f16_e32 v152, 0xb8b4, v142
	v_fmac_f16_e32 v165, 0x38b4, v142
	v_fmamk_f16 v143, v142, 0x3b9c, v77
	v_add_f16_e32 v71, v71, v169
	v_add_f16_e32 v169, v73, v147
	v_fmac_f16_e32 v152, 0x34f2, v67
	v_fmac_f16_e32 v165, 0x34f2, v67
	v_fmac_f16_e32 v77, 0xbb9c, v142
	v_add_f16_e32 v148, v148, v176
	v_add_f16_e32 v67, v169, v144
	;; [unrolled: 1-line block ×3, first 2 shown]
	v_fmac_f16_e32 v143, 0xb8b4, v145
	v_sub_f16_e32 v174, v147, v144
	v_sub_f16_e32 v175, v158, v149
	v_add_f16_e32 v176, v147, v158
	v_fmac_f16_e32 v77, 0x38b4, v145
	v_add_f16_e32 v67, v67, v149
	v_fma_f16 v172, -0.5, v172, v73
	v_sub_f16_e32 v173, v194, v146
	v_fmac_f16_e32 v143, 0x34f2, v71
	v_sub_f16_e32 v142, v196, v157
	v_add_f16_e32 v145, v174, v175
	v_fmac_f16_e32 v73, -0.5, v176
	v_fmac_f16_e32 v77, 0x34f2, v71
	v_add_f16_e32 v174, v67, v158
	v_sub_f16_e32 v67, v144, v147
	v_sub_f16_e32 v71, v149, v158
	v_add_f16_e32 v176, v76, v194
	v_fmamk_f16 v169, v173, 0x3b9c, v172
	v_fmac_f16_e32 v172, 0xbb9c, v173
	v_fmamk_f16 v175, v142, 0xbb9c, v73
	v_add_f16_e32 v177, v196, v157
	v_add_f16_e32 v67, v67, v71
	v_fmac_f16_e32 v73, 0x3b9c, v142
	v_add_f16_e32 v71, v176, v196
	v_fmac_f16_e32 v169, 0x38b4, v142
	v_fmac_f16_e32 v172, 0xb8b4, v142
	;; [unrolled: 1-line block ×3, first 2 shown]
	v_fma_f16 v176, -0.5, v177, v76
	v_sub_f16_e32 v142, v147, v158
	v_fmac_f16_e32 v73, 0xb8b4, v173
	v_add_f16_e32 v71, v71, v157
	v_add_f16_e32 v147, v194, v146
	v_fmac_f16_e32 v169, 0x34f2, v145
	v_fmac_f16_e32 v172, 0x34f2, v145
	;; [unrolled: 1-line block ×3, first 2 shown]
	v_fmamk_f16 v145, v142, 0xbb9c, v176
	v_sub_f16_e32 v144, v144, v149
	v_sub_f16_e32 v149, v194, v196
	;; [unrolled: 1-line block ×3, first 2 shown]
	v_fmac_f16_e32 v73, 0x34f2, v67
	v_fmac_f16_e32 v76, -0.5, v147
	v_add_f16_e32 v147, v71, v146
	v_fmac_f16_e32 v176, 0x3b9c, v142
	v_sub_f16_e32 v67, v196, v194
	v_sub_f16_e32 v146, v157, v146
	v_add_f16_e32 v157, v89, v141
	v_fmac_f16_e32 v145, 0xb8b4, v144
	v_add_f16_e32 v71, v149, v158
	v_fmamk_f16 v149, v144, 0x3b9c, v76
	v_fmac_f16_e32 v176, 0x38b4, v144
	v_add_f16_e32 v146, v67, v146
	v_fmac_f16_e32 v76, 0xbb9c, v144
	v_add_f16_e32 v144, v70, v94
	v_fma_f16 v67, -0.5, v157, v70
	v_sub_f16_e32 v157, v84, v91
	v_fmac_f16_e32 v145, 0x34f2, v71
	v_fmac_f16_e32 v149, 0xb8b4, v142
	;; [unrolled: 1-line block ×4, first 2 shown]
	v_add_f16_e32 v71, v144, v89
	v_fmamk_f16 v144, v157, 0x3b9c, v67
	v_sub_f16_e32 v142, v86, v90
	v_sub_f16_e32 v158, v94, v89
	;; [unrolled: 1-line block ×3, first 2 shown]
	v_fmac_f16_e32 v67, 0xbb9c, v157
	v_add_f16_e32 v177, v94, v150
	v_add_f16_e32 v71, v71, v141
	v_fmac_f16_e32 v144, 0x38b4, v142
	v_add_f16_e32 v158, v158, v173
	v_fmac_f16_e32 v67, 0xb8b4, v142
	v_fmac_f16_e32 v70, -0.5, v177
	v_sub_f16_e32 v173, v89, v94
	v_sub_f16_e32 v177, v141, v150
	v_fmac_f16_e32 v149, 0x34f2, v146
	v_fmac_f16_e32 v76, 0x34f2, v146
	v_add_f16_e32 v146, v71, v150
	v_fmac_f16_e32 v144, 0x34f2, v158
	v_fmac_f16_e32 v67, 0x34f2, v158
	v_fmamk_f16 v71, v142, 0xbb9c, v70
	v_add_f16_e32 v158, v86, v90
	v_fmac_f16_e32 v70, 0x3b9c, v142
	v_add_f16_e32 v178, v140, v84
	v_sub_f16_e32 v94, v94, v150
	v_add_f16_e32 v150, v173, v177
	v_add_f16_e32 v173, v84, v91
	v_fma_f16 v142, -0.5, v158, v140
	v_fmac_f16_e32 v71, 0x38b4, v157
	v_fmac_f16_e32 v70, 0xb8b4, v157
	v_add_f16_e32 v157, v178, v86
	v_sub_f16_e32 v89, v89, v141
	v_fmac_f16_e32 v140, -0.5, v173
	v_fmac_f16_e32 v71, 0x34f2, v150
	v_fmac_f16_e32 v70, 0x34f2, v150
	v_add_f16_e32 v150, v157, v90
	v_sub_f16_e32 v157, v84, v86
	v_fmamk_f16 v141, v89, 0x3b9c, v140
	v_sub_f16_e32 v84, v86, v84
	v_sub_f16_e32 v86, v90, v91
	v_fmac_f16_e32 v140, 0xbb9c, v89
	v_fmamk_f16 v158, v94, 0xbb9c, v142
	v_sub_f16_e32 v173, v91, v90
	v_fmac_f16_e32 v142, 0x3b9c, v94
	v_fmac_f16_e32 v141, 0xb8b4, v94
	v_add_f16_e32 v84, v84, v86
	v_fmac_f16_e32 v140, 0x38b4, v94
	v_fmac_f16_e32 v158, 0xb8b4, v89
	v_add_f16_e32 v90, v157, v173
	v_pack_b32_f16 v88, v88, v151
	v_fmac_f16_e32 v142, 0x38b4, v89
	v_pack_b32_f16 v89, v93, v159
	v_pack_b32_f16 v74, v74, v83
	;; [unrolled: 1-line block ×3, first 2 shown]
	v_add_f16_e32 v86, v150, v91
	v_fmac_f16_e32 v141, 0x34f2, v84
	v_fmac_f16_e32 v140, 0x34f2, v84
	v_pack_b32_f16 v84, v92, v148
	v_pack_b32_f16 v87, v162, v163
	v_fmac_f16_e32 v158, 0x34f2, v90
	ds_write_b32 v95, v88 offset:1100
	ds_write_b32 v95, v89 offset:2200
	;; [unrolled: 1-line block ×4, first 2 shown]
	ds_write2_b32 v95, v84, v87 offset1:55
	v_pack_b32_f16 v74, v160, v155
	v_pack_b32_f16 v87, v153, v152
	;; [unrolled: 1-line block ×6, first 2 shown]
	v_fmac_f16_e32 v142, 0x34f2, v90
	v_pack_b32_f16 v82, v164, v167
	v_pack_b32_f16 v77, v168, v165
	;; [unrolled: 1-line block ×6, first 2 shown]
	ds_write2_b32 v80, v74, v87 offset0:74 offset1:129
	ds_write2_b32 v78, v83, v88 offset0:93 offset1:148
	;; [unrolled: 1-line block ×5, first 2 shown]
	v_pack_b32_f16 v72, v169, v145
	v_pack_b32_f16 v77, v144, v158
	;; [unrolled: 1-line block ×4, first 2 shown]
	v_add_nc_u32_e32 v82, 0xa00, v95
	v_pack_b32_f16 v84, v70, v140
	v_pack_b32_f16 v75, v172, v176
	;; [unrolled: 1-line block ×3, first 2 shown]
	v_add_nc_u32_e32 v91, 0x1200, v95
	ds_write_b32 v95, v76 offset:880
	ds_write2_b32 v80, v72, v77 offset0:184 offset1:239
	ds_write2_b32 v82, v74, v83 offset0:75 offset1:130
	;; [unrolled: 1-line block ×4, first 2 shown]
	s_waitcnt lgkmcnt(0)
	s_barrier
	buffer_gl0_inv
	s_clause 0x3
	global_load_dword v86, v95, s[2:3]
	global_load_dword v94, v95, s[2:3] offset:500
	global_load_dword v149, v95, s[2:3] offset:1000
	;; [unrolled: 1-line block ×3, first 2 shown]
	v_add_co_u32 v74, s0, s2, v95
	global_load_dword v153, v95, s[2:3] offset:2000
	v_add_co_ci_u32_e64 v75, null, s3, 0, s0
	v_add_co_u32 v72, s0, 0x800, v74
	v_add_co_ci_u32_e64 v73, s0, 0, v75, s0
	s_clause 0x3
	global_load_dword v157, v[72:73], off offset:452
	global_load_dword v158, v[72:73], off offset:952
	;; [unrolled: 1-line block ×4, first 2 shown]
	v_add_co_u32 v76, s0, 0x1000, v74
	v_add_co_ci_u32_e64 v77, s0, 0, v75, s0
	s_clause 0xc
	global_load_dword v161, v[76:77], off offset:404
	global_load_dword v162, v[76:77], off offset:904
	global_load_dword v163, v95, s[2:3] offset:220
	global_load_dword v164, v95, s[2:3] offset:720
	;; [unrolled: 1-line block ×4, first 2 shown]
	global_load_dword v167, v[72:73], off offset:172
	global_load_dword v168, v[72:73], off offset:672
	;; [unrolled: 1-line block ×7, first 2 shown]
	ds_read2_b32 v[83:84], v95 offset1:55
	s_waitcnt lgkmcnt(0)
	v_lshrrev_b32_e32 v87, 16, v83
	s_waitcnt vmcnt(21)
	v_mul_f16_sdwa v88, v87, v86 dst_sel:DWORD dst_unused:UNUSED_PAD src0_sel:DWORD src1_sel:WORD_1
	v_mul_f16_sdwa v89, v83, v86 dst_sel:DWORD dst_unused:UNUSED_PAD src0_sel:DWORD src1_sel:WORD_1
	v_fma_f16 v83, v83, v86, -v88
	v_fmac_f16_e32 v89, v87, v86
	v_add_nc_u32_e32 v86, 0x600, v95
	v_pack_b32_f16 v83, v83, v89
	ds_write_b32 v95, v83
	ds_read2_b32 v[87:88], v95 offset0:125 offset1:180
	ds_read2_b32 v[89:90], v79 offset0:122 offset1:177
	;; [unrolled: 1-line block ×5, first 2 shown]
	s_waitcnt lgkmcnt(4)
	v_lshrrev_b32_e32 v83, 16, v87
	s_waitcnt vmcnt(20)
	v_mul_f16_sdwa v150, v87, v94 dst_sel:DWORD dst_unused:UNUSED_PAD src0_sel:DWORD src1_sel:WORD_1
	s_waitcnt lgkmcnt(3)
	v_lshrrev_b32_e32 v152, 16, v89
	s_waitcnt vmcnt(19)
	v_mul_f16_sdwa v154, v89, v149 dst_sel:DWORD dst_unused:UNUSED_PAD src0_sel:DWORD src1_sel:WORD_1
	s_waitcnt lgkmcnt(1)
	v_lshrrev_b32_e32 v155, 16, v143
	v_mul_f16_sdwa v145, v83, v94 dst_sel:DWORD dst_unused:UNUSED_PAD src0_sel:DWORD src1_sel:WORD_1
	v_fmac_f16_e32 v150, v83, v94
	v_lshrrev_b32_e32 v83, 16, v92
	v_fmac_f16_e32 v154, v152, v149
	s_waitcnt vmcnt(17)
	v_mul_f16_sdwa v174, v143, v153 dst_sel:DWORD dst_unused:UNUSED_PAD src0_sel:DWORD src1_sel:WORD_1
	v_fma_f16 v87, v87, v94, -v145
	ds_read2_b32 v[145:146], v78 offset0:113 offset1:168
	v_mul_f16_sdwa v94, v152, v149 dst_sel:DWORD dst_unused:UNUSED_PAD src0_sel:DWORD src1_sel:WORD_1
	s_waitcnt vmcnt(15) lgkmcnt(1)
	v_mul_f16_sdwa v178, v147, v158 dst_sel:DWORD dst_unused:UNUSED_PAD src0_sel:DWORD src1_sel:WORD_1
	v_fmac_f16_e32 v174, v155, v153
	v_pack_b32_f16 v87, v87, v150
	v_mul_f16_sdwa v150, v83, v151 dst_sel:DWORD dst_unused:UNUSED_PAD src0_sel:DWORD src1_sel:WORD_1
	v_fma_f16 v89, v89, v149, -v94
	v_mul_f16_sdwa v94, v92, v151 dst_sel:DWORD dst_unused:UNUSED_PAD src0_sel:DWORD src1_sel:WORD_1
	v_fma_f16 v92, v92, v151, -v150
	ds_read2_b32 v[149:150], v81 offset0:107 offset1:162
	v_fmac_f16_e32 v94, v83, v151
	v_mul_f16_sdwa v83, v155, v153 dst_sel:DWORD dst_unused:UNUSED_PAD src0_sel:DWORD src1_sel:WORD_1
	ds_read2_b32 v[151:152], v85 offset0:104 offset1:159
	v_pack_b32_f16 v89, v89, v154
	ds_read2_b32 v[155:156], v91 offset0:98 offset1:153
	v_pack_b32_f16 v92, v92, v94
	v_fma_f16 v83, v143, v153, -v83
	v_lshrrev_b32_e32 v143, 16, v147
	ds_read2_b32 v[153:154], v65 offset0:101 offset1:156
	s_waitcnt lgkmcnt(4)
	v_lshrrev_b32_e32 v94, 16, v145
	v_mul_f16_sdwa v176, v145, v157 dst_sel:DWORD dst_unused:UNUSED_PAD src0_sel:DWORD src1_sel:WORD_1
	v_pack_b32_f16 v83, v83, v174
	v_mul_f16_sdwa v177, v143, v158 dst_sel:DWORD dst_unused:UNUSED_PAD src0_sel:DWORD src1_sel:WORD_1
	v_fmac_f16_e32 v178, v143, v158
	v_mul_f16_sdwa v175, v94, v157 dst_sel:DWORD dst_unused:UNUSED_PAD src0_sel:DWORD src1_sel:WORD_1
	v_fmac_f16_e32 v176, v94, v157
	v_fma_f16 v94, v147, v158, -v177
	s_waitcnt lgkmcnt(3)
	v_lshrrev_b32_e32 v147, 16, v149
	v_fma_f16 v145, v145, v157, -v175
	s_waitcnt vmcnt(14)
	v_mul_f16_sdwa v158, v149, v159 dst_sel:DWORD dst_unused:UNUSED_PAD src0_sel:DWORD src1_sel:WORD_1
	s_waitcnt lgkmcnt(2)
	v_lshrrev_b32_e32 v143, 16, v151
	s_waitcnt vmcnt(13)
	v_mul_f16_sdwa v175, v151, v160 dst_sel:DWORD dst_unused:UNUSED_PAD src0_sel:DWORD src1_sel:WORD_1
	v_mul_f16_sdwa v157, v147, v159 dst_sel:DWORD dst_unused:UNUSED_PAD src0_sel:DWORD src1_sel:WORD_1
	v_pack_b32_f16 v145, v145, v176
	v_fmac_f16_e32 v158, v147, v159
	v_mul_f16_sdwa v174, v143, v160 dst_sel:DWORD dst_unused:UNUSED_PAD src0_sel:DWORD src1_sel:WORD_1
	v_fmac_f16_e32 v175, v143, v160
	v_fma_f16 v149, v149, v159, -v157
	s_waitcnt lgkmcnt(0)
	v_lshrrev_b32_e32 v157, 16, v153
	v_lshrrev_b32_e32 v143, 16, v155
	v_fma_f16 v147, v151, v160, -v174
	v_pack_b32_f16 v94, v94, v178
	v_pack_b32_f16 v149, v149, v158
	s_waitcnt vmcnt(12)
	v_mul_f16_sdwa v151, v157, v161 dst_sel:DWORD dst_unused:UNUSED_PAD src0_sel:DWORD src1_sel:WORD_1
	v_mul_f16_sdwa v158, v153, v161 dst_sel:DWORD dst_unused:UNUSED_PAD src0_sel:DWORD src1_sel:WORD_1
	s_waitcnt vmcnt(11)
	v_mul_f16_sdwa v159, v143, v162 dst_sel:DWORD dst_unused:UNUSED_PAD src0_sel:DWORD src1_sel:WORD_1
	v_pack_b32_f16 v147, v147, v175
	s_waitcnt vmcnt(9)
	v_mul_f16_sdwa v175, v88, v164 dst_sel:DWORD dst_unused:UNUSED_PAD src0_sel:DWORD src1_sel:WORD_1
	v_fma_f16 v151, v153, v161, -v151
	v_lshrrev_b32_e32 v153, 16, v84
	v_fmac_f16_e32 v158, v157, v161
	v_lshrrev_b32_e32 v157, 16, v88
	v_mul_f16_sdwa v161, v84, v163 dst_sel:DWORD dst_unused:UNUSED_PAD src0_sel:DWORD src1_sel:WORD_1
	v_fma_f16 v159, v155, v162, -v159
	v_mul_f16_sdwa v160, v153, v163 dst_sel:DWORD dst_unused:UNUSED_PAD src0_sel:DWORD src1_sel:WORD_1
	v_mul_f16_sdwa v155, v155, v162 dst_sel:DWORD dst_unused:UNUSED_PAD src0_sel:DWORD src1_sel:WORD_1
	;; [unrolled: 1-line block ×3, first 2 shown]
	v_fmac_f16_e32 v161, v153, v163
	v_fmac_f16_e32 v175, v157, v164
	v_fma_f16 v84, v84, v163, -v160
	v_fmac_f16_e32 v155, v143, v162
	v_fma_f16 v88, v88, v164, -v174
	v_lshrrev_b32_e32 v143, 16, v90
	v_lshrrev_b32_e32 v157, 16, v93
	v_pack_b32_f16 v84, v84, v161
	v_pack_b32_f16 v153, v159, v155
	;; [unrolled: 1-line block ×3, first 2 shown]
	s_waitcnt vmcnt(8)
	v_mul_f16_sdwa v155, v143, v165 dst_sel:DWORD dst_unused:UNUSED_PAD src0_sel:DWORD src1_sel:WORD_1
	v_pack_b32_f16 v151, v151, v158
	ds_write2_b32 v95, v84, v87 offset0:55 offset1:125
	v_mul_f16_sdwa v84, v90, v165 dst_sel:DWORD dst_unused:UNUSED_PAD src0_sel:DWORD src1_sel:WORD_1
	ds_write2_b32 v95, v88, v89 offset0:180 offset1:250
	s_waitcnt vmcnt(7)
	v_mul_f16_sdwa v88, v157, v166 dst_sel:DWORD dst_unused:UNUSED_PAD src0_sel:DWORD src1_sel:WORD_1
	v_lshrrev_b32_e32 v89, 16, v144
	v_fma_f16 v87, v90, v165, -v155
	v_fmac_f16_e32 v84, v143, v165
	v_mul_f16_sdwa v90, v93, v166 dst_sel:DWORD dst_unused:UNUSED_PAD src0_sel:DWORD src1_sel:WORD_1
	v_lshrrev_b32_e32 v143, 16, v146
	v_fma_f16 v88, v93, v166, -v88
	s_waitcnt vmcnt(6)
	v_mul_f16_sdwa v93, v89, v167 dst_sel:DWORD dst_unused:UNUSED_PAD src0_sel:DWORD src1_sel:WORD_1
	v_mul_f16_sdwa v155, v144, v167 dst_sel:DWORD dst_unused:UNUSED_PAD src0_sel:DWORD src1_sel:WORD_1
	v_fmac_f16_e32 v90, v157, v166
	s_waitcnt vmcnt(5)
	v_mul_f16_sdwa v157, v143, v168 dst_sel:DWORD dst_unused:UNUSED_PAD src0_sel:DWORD src1_sel:WORD_1
	v_mul_f16_sdwa v158, v146, v168 dst_sel:DWORD dst_unused:UNUSED_PAD src0_sel:DWORD src1_sel:WORD_1
	v_fma_f16 v93, v144, v167, -v93
	v_fmac_f16_e32 v155, v89, v167
	v_pack_b32_f16 v84, v87, v84
	v_fma_f16 v87, v146, v168, -v157
	v_fmac_f16_e32 v158, v143, v168
	v_pack_b32_f16 v88, v88, v90
	v_pack_b32_f16 v89, v93, v155
	ds_write2_b32 v80, v84, v92 offset0:49 offset1:119
	ds_write2_b32 v80, v88, v83 offset0:174 offset1:244
	;; [unrolled: 1-line block ×3, first 2 shown]
	v_pack_b32_f16 v87, v87, v158
	v_lshrrev_b32_e32 v83, 16, v150
	s_waitcnt vmcnt(3)
	v_mul_f16_sdwa v92, v150, v170 dst_sel:DWORD dst_unused:UNUSED_PAD src0_sel:DWORD src1_sel:WORD_1
	v_lshrrev_b32_e32 v84, 16, v148
	v_lshrrev_b32_e32 v89, 16, v152
	ds_write2_b32 v78, v87, v94 offset0:168 offset1:238
	v_mul_f16_sdwa v87, v148, v169 dst_sel:DWORD dst_unused:UNUSED_PAD src0_sel:DWORD src1_sel:WORD_1
	v_lshrrev_b32_e32 v93, 16, v154
	v_mul_f16_sdwa v90, v83, v170 dst_sel:DWORD dst_unused:UNUSED_PAD src0_sel:DWORD src1_sel:WORD_1
	v_fmac_f16_e32 v92, v83, v170
	v_lshrrev_b32_e32 v83, 16, v156
	v_mul_f16_sdwa v88, v84, v169 dst_sel:DWORD dst_unused:UNUSED_PAD src0_sel:DWORD src1_sel:WORD_1
	v_fmac_f16_e32 v87, v84, v169
	s_waitcnt vmcnt(2)
	v_mul_f16_sdwa v84, v89, v171 dst_sel:DWORD dst_unused:UNUSED_PAD src0_sel:DWORD src1_sel:WORD_1
	v_mul_f16_sdwa v94, v152, v171 dst_sel:DWORD dst_unused:UNUSED_PAD src0_sel:DWORD src1_sel:WORD_1
	s_waitcnt vmcnt(1)
	v_mul_f16_sdwa v143, v93, v172 dst_sel:DWORD dst_unused:UNUSED_PAD src0_sel:DWORD src1_sel:WORD_1
	v_mul_f16_sdwa v144, v154, v172 dst_sel:DWORD dst_unused:UNUSED_PAD src0_sel:DWORD src1_sel:WORD_1
	;; [unrolled: 3-line block ×3, first 2 shown]
	v_fma_f16 v88, v148, v169, -v88
	v_fma_f16 v90, v150, v170, -v90
	;; [unrolled: 1-line block ×3, first 2 shown]
	v_fmac_f16_e32 v94, v89, v171
	v_fma_f16 v89, v154, v172, -v143
	v_fmac_f16_e32 v144, v93, v172
	v_fma_f16 v93, v156, v173, -v145
	v_fmac_f16_e32 v146, v83, v173
	v_pack_b32_f16 v83, v88, v87
	v_pack_b32_f16 v87, v90, v92
	;; [unrolled: 1-line block ×5, first 2 shown]
	ds_write2_b32 v81, v83, v149 offset0:37 offset1:107
	ds_write2_b32 v81, v87, v147 offset0:162 offset1:232
	;; [unrolled: 1-line block ×4, first 2 shown]
	ds_write_b32 v95, v89 offset:5220
	s_and_saveexec_b32 s0, vcc_lo
	s_cbranch_execz .LBB0_9
; %bb.8:
	s_clause 0x7
	global_load_dword v83, v[74:75], off offset:440
	global_load_dword v84, v[74:75], off offset:940
	;; [unrolled: 1-line block ×8, first 2 shown]
	v_lshl_or_b32 v72, v115, 2, 0x1540
	s_clause 0x2
	global_load_dword v94, v[76:77], off offset:344
	global_load_dword v143, v[76:77], off offset:844
	global_load_dword v144, v72, s[2:3]
	ds_read2_b32 v[72:73], v95 offset0:110 offset1:235
	s_waitcnt lgkmcnt(0)
	v_lshrrev_b32_e32 v74, 16, v72
	v_lshrrev_b32_e32 v75, 16, v73
	s_waitcnt vmcnt(10)
	v_mul_f16_sdwa v76, v74, v83 dst_sel:DWORD dst_unused:UNUSED_PAD src0_sel:DWORD src1_sel:WORD_1
	v_mul_f16_sdwa v77, v72, v83 dst_sel:DWORD dst_unused:UNUSED_PAD src0_sel:DWORD src1_sel:WORD_1
	s_waitcnt vmcnt(9)
	v_mul_f16_sdwa v145, v75, v84 dst_sel:DWORD dst_unused:UNUSED_PAD src0_sel:DWORD src1_sel:WORD_1
	v_mul_f16_sdwa v146, v73, v84 dst_sel:DWORD dst_unused:UNUSED_PAD src0_sel:DWORD src1_sel:WORD_1
	v_fma_f16 v72, v72, v83, -v76
	v_fmac_f16_e32 v77, v74, v83
	v_fma_f16 v73, v73, v84, -v145
	v_fmac_f16_e32 v146, v75, v84
	v_pack_b32_f16 v72, v72, v77
	v_pack_b32_f16 v73, v73, v146
	ds_write2_b32 v95, v72, v73 offset0:110 offset1:235
	ds_read2_b32 v[72:73], v80 offset0:104 offset1:229
	ds_read2_b32 v[74:75], v78 offset0:98 offset1:223
	;; [unrolled: 1-line block ×4, first 2 shown]
	ds_read_b32 v145, v95 offset:5440
	s_waitcnt lgkmcnt(4)
	v_lshrrev_b32_e32 v146, 16, v72
	s_waitcnt vmcnt(8)
	v_mul_f16_sdwa v147, v72, v87 dst_sel:DWORD dst_unused:UNUSED_PAD src0_sel:DWORD src1_sel:WORD_1
	v_lshrrev_b32_e32 v148, 16, v73
	s_waitcnt vmcnt(7)
	v_mul_f16_sdwa v149, v73, v88 dst_sel:DWORD dst_unused:UNUSED_PAD src0_sel:DWORD src1_sel:WORD_1
	s_waitcnt lgkmcnt(3)
	v_lshrrev_b32_e32 v150, 16, v74
	s_waitcnt vmcnt(6)
	v_mul_f16_sdwa v151, v74, v89 dst_sel:DWORD dst_unused:UNUSED_PAD src0_sel:DWORD src1_sel:WORD_1
	v_lshrrev_b32_e32 v152, 16, v75
	s_waitcnt vmcnt(5)
	v_mul_f16_sdwa v153, v75, v90 dst_sel:DWORD dst_unused:UNUSED_PAD src0_sel:DWORD src1_sel:WORD_1
	;; [unrolled: 7-line block ×4, first 2 shown]
	s_waitcnt lgkmcnt(0)
	v_lshrrev_b32_e32 v162, 16, v145
	v_mul_f16_sdwa v164, v146, v87 dst_sel:DWORD dst_unused:UNUSED_PAD src0_sel:DWORD src1_sel:WORD_1
	v_fmac_f16_e32 v147, v146, v87
	v_mul_f16_sdwa v146, v148, v88 dst_sel:DWORD dst_unused:UNUSED_PAD src0_sel:DWORD src1_sel:WORD_1
	v_fmac_f16_e32 v149, v148, v88
	;; [unrolled: 2-line block ×7, first 2 shown]
	v_mul_f16_sdwa v158, v160, v143 dst_sel:DWORD dst_unused:UNUSED_PAD src0_sel:DWORD src1_sel:WORD_1
	s_waitcnt vmcnt(0)
	v_mul_f16_sdwa v163, v145, v144 dst_sel:DWORD dst_unused:UNUSED_PAD src0_sel:DWORD src1_sel:WORD_1
	v_fmac_f16_e32 v161, v160, v143
	v_mul_f16_sdwa v160, v162, v144 dst_sel:DWORD dst_unused:UNUSED_PAD src0_sel:DWORD src1_sel:WORD_1
	v_fma_f16 v72, v72, v87, -v164
	v_fma_f16 v73, v73, v88, -v146
	;; [unrolled: 1-line block ×8, first 2 shown]
	v_fmac_f16_e32 v163, v162, v144
	v_fma_f16 v87, v145, v144, -v160
	v_pack_b32_f16 v72, v72, v147
	v_pack_b32_f16 v73, v73, v149
	;; [unrolled: 1-line block ×9, first 2 shown]
	ds_write2_b32 v80, v72, v73 offset0:104 offset1:229
	ds_write2_b32 v78, v74, v75 offset0:98 offset1:223
	;; [unrolled: 1-line block ×4, first 2 shown]
	ds_write_b32 v95, v87 offset:5440
.LBB0_9:
	s_or_b32 exec_lo, exec_lo, s0
	s_waitcnt lgkmcnt(0)
	s_barrier
	buffer_gl0_inv
	ds_read2_b32 v[73:74], v95 offset1:55
	ds_read2_b32 v[93:94], v95 offset0:125 offset1:180
	ds_read2_b32 v[87:88], v79 offset0:122 offset1:177
	;; [unrolled: 1-line block ×10, first 2 shown]
	v_lshrrev_b32_e32 v65, 16, v131
	s_and_saveexec_b32 s0, vcc_lo
	s_cbranch_execz .LBB0_11
; %bb.10:
	v_add_nc_u32_e32 v63, 0x400, v95
	v_add_nc_u32_e32 v64, 0x800, v95
	;; [unrolled: 1-line block ×3, first 2 shown]
	ds_read2_b32 v[71:72], v95 offset0:110 offset1:235
	ds_read2_b32 v[67:68], v63 offset0:104 offset1:229
	v_add_nc_u32_e32 v63, 0x1000, v95
	ds_read2_b32 v[69:70], v64 offset0:98 offset1:223
	ds_read2_b32 v[65:66], v65 offset0:92 offset1:217
	;; [unrolled: 1-line block ×3, first 2 shown]
	ds_read_b32 v121, v95 offset:5440
	s_waitcnt lgkmcnt(5)
	v_lshrrev_b32_e32 v141, 16, v71
	v_lshrrev_b32_e32 v140, 16, v72
	s_waitcnt lgkmcnt(4)
	v_lshrrev_b32_e32 v142, 16, v67
	v_lshrrev_b32_e32 v125, 16, v68
	;; [unrolled: 3-line block ×5, first 2 shown]
	s_waitcnt lgkmcnt(0)
	v_bfi_b32 v126, 0xffff, v70, v121
	v_mov_b32_e32 v70, v72
.LBB0_11:
	s_or_b32 exec_lo, exec_lo, s0
	s_waitcnt lgkmcnt(9)
	v_pk_add_f16 v72, v73, v93
	s_waitcnt lgkmcnt(0)
	v_pk_add_f16 v147, v93, v91 neg_lo:[0,1] neg_hi:[0,1]
	v_pk_add_f16 v146, v91, v93
	v_mov_b32_e32 v93, 0xb93d
	v_pk_add_f16 v151, v87, v89 neg_lo:[0,1] neg_hi:[0,1]
	v_pk_add_f16 v143, v72, v87
	v_pk_mul_f16 v152, 0xb853, v147 op_sel_hi:[0,1]
	v_mov_b32_e32 v148, 0xbb47
	v_mov_b32_e32 v72, 0x36a6
	v_mul_f16_sdwa v163, v146, v93 dst_sel:DWORD dst_unused:UNUSED_PAD src0_sel:WORD_1 src1_sel:DWORD
	v_pk_add_f16 v149, v143, v83
	v_mov_b32_e32 v143, 0xba0c
	v_pk_fma_f16 v157, 0x3abb, v146, v152 op_sel:[0,0,1] op_sel_hi:[0,1,0]
	v_pk_fma_f16 v152, 0x3abb, v146, v152 op_sel:[0,0,1] op_sel_hi:[0,1,0] neg_lo:[0,0,1] neg_hi:[0,0,1]
	v_pk_add_f16 v164, v89, v87
	v_pk_add_f16 v149, v149, v79
	v_pk_mul_f16 v87, 0xbb47, v151 op_sel_hi:[0,1]
	v_mov_b32_e32 v150, 0xbbeb
	v_mov_b32_e32 v144, 0xb08e
	v_mul_f16_sdwa v153, v147, v148 dst_sel:DWORD dst_unused:UNUSED_PAD src0_sel:WORD_1 src1_sel:DWORD
	v_pk_add_f16 v149, v149, v75
	v_mul_f16_sdwa v154, v146, v72 dst_sel:DWORD dst_unused:UNUSED_PAD src0_sel:WORD_1 src1_sel:DWORD
	v_bfi_b32 v162, 0xffff, v157, v152
	v_fmamk_f16 v165, v147, 0x3a0c, v163
	v_pk_fma_f16 v166, 0x36a6, v164, v87 op_sel:[0,0,1] op_sel_hi:[0,1,0]
	v_pk_add_f16 v149, v149, v77
	v_pk_fma_f16 v167, 0x36a6, v164, v87 op_sel:[0,0,1] op_sel_hi:[0,1,0] neg_lo:[0,0,1] neg_hi:[0,0,1]
	v_mul_f16_sdwa v155, v147, v150 dst_sel:DWORD dst_unused:UNUSED_PAD src0_sel:WORD_1 src1_sel:DWORD
	v_mul_f16_sdwa v156, v146, v144 dst_sel:DWORD dst_unused:UNUSED_PAD src0_sel:WORD_1 src1_sel:DWORD
	v_fmamk_f16 v158, v146, 0x36a6, v153
	v_pk_add_f16 v149, v149, v81
	v_fmamk_f16 v159, v147, 0x3b47, v154
	v_fma_f16 v153, v146, 0x36a6, -v153
	v_pk_add_f16 v162, v73, v162
	v_mul_f16_sdwa v170, v164, v93 dst_sel:DWORD dst_unused:UNUSED_PAD src0_sel:WORD_1 src1_sel:DWORD
	v_pk_add_f16 v149, v149, v85
	v_mov_b32_e32 v171, 0x3482
	v_fmac_f16_e32 v154, 0xbb47, v147
	v_fmamk_f16 v160, v146, 0xb08e, v155
	v_fmamk_f16 v161, v147, 0x3beb, v156
	v_pk_add_f16 v149, v149, v89
	v_add_f16_e32 v158, v73, v158
	v_add_f16_sdwa v159, v73, v159 dst_sel:DWORD dst_unused:UNUSED_PAD src0_sel:WORD_1 src1_sel:DWORD
	v_add_f16_e32 v153, v73, v153
	v_fmamk_f16 v172, v151, 0x3a0c, v170
	v_pk_add_f16 v91, v149, v91
	v_mul_f16_sdwa v149, v147, v143 dst_sel:DWORD dst_unused:UNUSED_PAD src0_sel:WORD_1 src1_sel:DWORD
	v_mul_f16_sdwa v173, v151, v171 dst_sel:DWORD dst_unused:UNUSED_PAD src0_sel:WORD_1 src1_sel:DWORD
	v_fma_f16 v155, v146, 0xb08e, -v155
	v_add_f16_sdwa v154, v73, v154 dst_sel:DWORD dst_unused:UNUSED_PAD src0_sel:WORD_1 src1_sel:DWORD
	v_add_f16_e32 v160, v73, v160
	v_fmamk_f16 v89, v146, 0xb93d, v149
	v_fma_f16 v87, v146, 0xb93d, -v149
	v_add_f16_sdwa v149, v73, v165 dst_sel:DWORD dst_unused:UNUSED_PAD src0_sel:WORD_1 src1_sel:DWORD
	v_mul_f16_sdwa v165, v151, v143 dst_sel:DWORD dst_unused:UNUSED_PAD src0_sel:WORD_1 src1_sel:DWORD
	v_add_f16_sdwa v161, v73, v161 dst_sel:DWORD dst_unused:UNUSED_PAD src0_sel:WORD_1 src1_sel:DWORD
	v_add_f16_e32 v168, v73, v89
	v_bfi_b32 v89, 0xffff, v166, v167
	v_add_f16_e32 v169, v73, v87
	v_mov_b32_e32 v87, 0xbbad
	v_add_f16_e32 v159, v172, v159
	v_fmac_f16_e32 v170, 0xba0c, v151
	v_pk_add_f16 v162, v89, v162
	v_fmamk_f16 v89, v164, 0xb93d, v165
	v_fma_f16 v165, v164, 0xb93d, -v165
	v_mul_f16_sdwa v174, v164, v87 dst_sel:DWORD dst_unused:UNUSED_PAD src0_sel:WORD_1 src1_sel:DWORD
	v_fmac_f16_e32 v156, 0xbbeb, v147
	v_add_f16_e32 v155, v73, v155
	v_add_f16_e32 v158, v89, v158
	;; [unrolled: 1-line block ×3, first 2 shown]
	v_fmamk_f16 v165, v164, 0xbbad, v173
	v_fmamk_f16 v172, v151, 0xb482, v174
	v_mov_b32_e32 v89, 0x3beb
	v_fma_f16 v173, v164, 0xbbad, -v173
	v_add_f16_e32 v154, v170, v154
	v_add_f16_e32 v160, v165, v160
	;; [unrolled: 1-line block ×3, first 2 shown]
	v_mul_f16_sdwa v165, v151, v89 dst_sel:DWORD dst_unused:UNUSED_PAD src0_sel:WORD_1 src1_sel:DWORD
	v_pk_add_f16 v170, v83, v85 neg_lo:[0,1] neg_hi:[0,1]
	v_mul_f16_sdwa v172, v164, v144 dst_sel:DWORD dst_unused:UNUSED_PAD src0_sel:WORD_1 src1_sel:DWORD
	v_add_f16_sdwa v156, v73, v156 dst_sel:DWORD dst_unused:UNUSED_PAD src0_sel:WORD_1 src1_sel:DWORD
	v_fmac_f16_e32 v163, 0xba0c, v147
	v_add_f16_e32 v155, v173, v155
	v_fmac_f16_e32 v174, 0x3482, v151
	v_fmamk_f16 v173, v164, 0xb08e, v165
	v_pk_add_f16 v175, v85, v83
	v_pk_mul_f16 v83, 0xbbeb, v170 op_sel_hi:[0,1]
	v_fmamk_f16 v85, v151, 0xbbeb, v172
	v_add_f16_sdwa v163, v73, v163 dst_sel:DWORD dst_unused:UNUSED_PAD src0_sel:WORD_1 src1_sel:DWORD
	v_add_f16_e32 v156, v174, v156
	v_add_f16_e32 v168, v173, v168
	v_fma_f16 v165, v164, 0xb08e, -v165
	v_pk_fma_f16 v173, 0xb08e, v175, v83 op_sel:[0,0,1] op_sel_hi:[0,1,0]
	v_pk_fma_f16 v174, 0xb08e, v175, v83 op_sel:[0,0,1] op_sel_hi:[0,1,0] neg_lo:[0,0,1] neg_hi:[0,0,1]
	v_add_f16_e32 v149, v85, v149
	v_fmac_f16_e32 v172, 0x3beb, v151
	v_mul_f16_sdwa v85, v170, v171 dst_sel:DWORD dst_unused:UNUSED_PAD src0_sel:WORD_1 src1_sel:DWORD
	v_add_f16_e32 v165, v165, v169
	v_bfi_b32 v169, 0xffff, v173, v174
	v_mul_f16_sdwa v176, v175, v87 dst_sel:DWORD dst_unused:UNUSED_PAD src0_sel:WORD_1 src1_sel:DWORD
	v_add_f16_e32 v163, v172, v163
	v_fmamk_f16 v172, v175, 0xbbad, v85
	v_mov_b32_e32 v83, 0x3b47
	v_pk_add_f16 v162, v169, v162
	v_fmamk_f16 v169, v170, 0xb482, v176
	v_mul_f16_sdwa v177, v175, v72 dst_sel:DWORD dst_unused:UNUSED_PAD src0_sel:WORD_1 src1_sel:DWORD
	v_add_f16_e32 v158, v172, v158
	v_mul_f16_sdwa v172, v170, v83 dst_sel:DWORD dst_unused:UNUSED_PAD src0_sel:WORD_1 src1_sel:DWORD
	v_fma_f16 v85, v175, 0xbbad, -v85
	v_add_f16_e32 v159, v169, v159
	v_fmamk_f16 v178, v170, 0xbb47, v177
	v_mov_b32_e32 v179, 0xb853
	v_fmamk_f16 v169, v175, 0x36a6, v172
	v_add_f16_e32 v153, v85, v153
	v_fmac_f16_e32 v176, 0x3482, v170
	v_mov_b32_e32 v85, 0x3abb
	v_add_f16_e32 v161, v178, v161
	v_add_f16_e32 v160, v169, v160
	v_mul_f16_sdwa v169, v170, v179 dst_sel:DWORD dst_unused:UNUSED_PAD src0_sel:WORD_1 src1_sel:DWORD
	v_pk_add_f16 v178, v79, v81 neg_lo:[0,1] neg_hi:[0,1]
	v_fmac_f16_e32 v177, 0x3b47, v170
	v_add_f16_e32 v154, v176, v154
	v_mul_f16_sdwa v176, v175, v85 dst_sel:DWORD dst_unused:UNUSED_PAD src0_sel:WORD_1 src1_sel:DWORD
	v_fma_f16 v172, v175, 0x36a6, -v172
	v_fmamk_f16 v180, v175, 0x3abb, v169
	v_pk_add_f16 v79, v81, v79
	v_pk_mul_f16 v81, 0xba0c, v178 op_sel_hi:[0,1]
	v_add_f16_e32 v156, v177, v156
	v_fma_f16 v169, v175, 0x3abb, -v169
	v_mul_f16_sdwa v177, v178, v89 dst_sel:DWORD dst_unused:UNUSED_PAD src0_sel:WORD_1 src1_sel:DWORD
	v_fmamk_f16 v181, v170, 0x3853, v176
	v_add_f16_e32 v155, v172, v155
	v_add_f16_e32 v168, v180, v168
	v_pk_fma_f16 v172, 0xb93d, v79, v81 op_sel:[0,0,1] op_sel_hi:[0,1,0]
	v_pk_fma_f16 v81, 0xb93d, v79, v81 op_sel:[0,0,1] op_sel_hi:[0,1,0] neg_lo:[0,0,1] neg_hi:[0,0,1]
	v_fmac_f16_e32 v176, 0xb853, v170
	v_mul_f16_sdwa v180, v79, v144 dst_sel:DWORD dst_unused:UNUSED_PAD src0_sel:WORD_1 src1_sel:DWORD
	v_add_f16_e32 v165, v169, v165
	v_fmamk_f16 v169, v79, 0xb08e, v177
	v_add_f16_e32 v149, v181, v149
	v_bfi_b32 v181, 0xffff, v172, v81
	v_add_f16_e32 v163, v176, v163
	v_fmamk_f16 v176, v178, 0xbbeb, v180
	v_fma_f16 v177, v79, 0xb08e, -v177
	v_add_f16_e32 v158, v169, v158
	v_mul_f16_sdwa v169, v178, v179 dst_sel:DWORD dst_unused:UNUSED_PAD src0_sel:WORD_1 src1_sel:DWORD
	v_pk_add_f16 v162, v181, v162
	v_add_f16_e32 v159, v176, v159
	v_mul_f16_sdwa v176, v79, v85 dst_sel:DWORD dst_unused:UNUSED_PAD src0_sel:WORD_1 src1_sel:DWORD
	v_add_f16_e32 v153, v177, v153
	v_fmamk_f16 v177, v79, 0x3abb, v169
	v_mov_b32_e32 v181, 0xb482
	v_fma_f16 v169, v79, 0x3abb, -v169
	v_fmac_f16_e32 v180, 0x3beb, v178
	v_fmamk_f16 v182, v178, 0x3853, v176
	v_add_f16_e32 v160, v177, v160
	v_mul_f16_sdwa v177, v178, v181 dst_sel:DWORD dst_unused:UNUSED_PAD src0_sel:WORD_1 src1_sel:DWORD
	v_add_f16_e32 v155, v169, v155
	v_pk_add_f16 v169, v75, v77 neg_lo:[0,1] neg_hi:[0,1]
	v_fmac_f16_e32 v176, 0xb853, v178
	v_add_f16_e32 v154, v180, v154
	v_add_f16_e32 v161, v182, v161
	v_fmamk_f16 v180, v79, 0xbbad, v177
	v_mul_f16_sdwa v182, v79, v87 dst_sel:DWORD dst_unused:UNUSED_PAD src0_sel:WORD_1 src1_sel:DWORD
	v_pk_add_f16 v75, v77, v75
	v_pk_mul_f16 v77, 0xb482, v169 op_sel_hi:[0,1]
	v_add_f16_e32 v156, v176, v156
	v_mov_b32_e32 v176, 0x3853
	v_add_f16_e32 v168, v180, v168
	v_fmamk_f16 v180, v178, 0x3482, v182
	v_pk_fma_f16 v183, 0xbbad, v75, v77 op_sel:[0,0,1] op_sel_hi:[0,1,0]
	v_pk_fma_f16 v77, 0xbbad, v75, v77 op_sel:[0,0,1] op_sel_hi:[0,1,0] neg_lo:[0,0,1] neg_hi:[0,0,1]
	v_mul_f16_sdwa v184, v169, v176 dst_sel:DWORD dst_unused:UNUSED_PAD src0_sel:WORD_1 src1_sel:DWORD
	v_fma_f16 v177, v79, 0xbbad, -v177
	v_add_f16_e32 v149, v180, v149
	v_fmac_f16_e32 v182, 0xb482, v178
	v_bfi_b32 v180, 0xffff, v183, v77
	v_fmamk_f16 v185, v75, 0x3abb, v184
	v_add_f16_e32 v165, v177, v165
	v_mul_f16_sdwa v177, v75, v85 dst_sel:DWORD dst_unused:UNUSED_PAD src0_sel:WORD_1 src1_sel:DWORD
	v_add_f16_e32 v163, v182, v163
	v_pk_add_f16 v162, v180, v162
	v_add_f16_e32 v158, v185, v158
	v_mul_f16_sdwa v180, v169, v143 dst_sel:DWORD dst_unused:UNUSED_PAD src0_sel:WORD_1 src1_sel:DWORD
	v_fmamk_f16 v182, v169, 0xb853, v177
	v_fmac_f16_e32 v177, 0x3853, v169
	v_mul_f16_sdwa v185, v75, v93 dst_sel:DWORD dst_unused:UNUSED_PAD src0_sel:WORD_1 src1_sel:DWORD
	v_fma_f16 v184, v75, 0x3abb, -v184
	v_fmamk_f16 v186, v75, 0xb93d, v180
	v_add_f16_e32 v159, v182, v159
	v_add_f16_e32 v154, v177, v154
	v_fmamk_f16 v177, v169, 0x3a0c, v185
	v_fma_f16 v180, v75, 0xb93d, -v180
	v_mul_f16_sdwa v182, v169, v83 dst_sel:DWORD dst_unused:UNUSED_PAD src0_sel:WORD_1 src1_sel:DWORD
	v_pk_mul_f16 v146, 0xbbad, v146 op_sel_hi:[0,1]
	v_add_f16_e32 v153, v184, v153
	v_add_f16_e32 v161, v177, v161
	v_mul_f16_sdwa v177, v75, v72 dst_sel:DWORD dst_unused:UNUSED_PAD src0_sel:WORD_1 src1_sel:DWORD
	v_add_f16_e32 v155, v180, v155
	v_fmamk_f16 v180, v75, 0x36a6, v182
	v_add_f16_e32 v160, v186, v160
	v_pk_mul_f16 v164, 0x3abb, v164 op_sel_hi:[0,1]
	v_fmamk_f16 v184, v169, 0xbb47, v177
	v_fmac_f16_e32 v177, 0x3b47, v169
	v_add_f16_e32 v168, v180, v168
	v_pk_fma_f16 v180, 0xb482, v147, v146 op_sel:[0,0,1] op_sel_hi:[0,1,0]
	s_barrier
	buffer_gl0_inv
	v_add_f16_e32 v163, v177, v163
	v_alignbit_b32 v177, s0, v180, 16
	ds_write2_b32 v120, v91, v162 offset1:1
	v_pack_b32_f16 v91, v160, v161
	v_pk_fma_f16 v146, 0xb482, v147, v146 op_sel:[0,0,1] op_sel_hi:[0,1,0] neg_lo:[0,1,0] neg_hi:[0,1,0]
	v_pk_fma_f16 v147, 0x3853, v151, v164 op_sel:[0,0,1] op_sel_hi:[0,1,0]
	v_pk_mul_f16 v161, 0xb93d, v175 op_sel_hi:[0,1]
	v_pk_add_f16 v160, v73, v177
	v_alignbit_b32 v162, s0, v73, 16
	v_pk_add_f16 v146, v73, v146 op_sel:[1,0] op_sel_hi:[0,1]
	v_alignbit_b32 v175, s0, v147, 16
	v_pk_fma_f16 v151, 0x3853, v151, v164 op_sel:[0,0,1] op_sel_hi:[0,1,0] neg_lo:[0,1,0] neg_hi:[0,1,0]
	v_pk_fma_f16 v164, 0xba0c, v170, v161 op_sel:[0,0,1] op_sel_hi:[0,1,0]
	v_pk_mul_f16 v79, 0x36a6, v79 op_sel_hi:[0,1]
	v_pk_add_f16 v162, v162, v180
	v_pk_add_f16 v160, v175, v160
	;; [unrolled: 1-line block ×3, first 2 shown]
	v_alignbit_b32 v151, s0, v164, 16
	v_pk_fma_f16 v161, 0xba0c, v170, v161 op_sel:[0,0,1] op_sel_hi:[0,1,0] neg_lo:[0,1,0] neg_hi:[0,1,0]
	v_pk_fma_f16 v170, 0x3b47, v178, v79 op_sel:[0,0,1] op_sel_hi:[0,1,0]
	v_pk_add_f16 v145, v74, v94
	v_fma_f16 v182, v75, 0x36a6, -v182
	v_pack_b32_f16 v158, v158, v159
	v_pk_add_f16 v147, v147, v162
	v_pk_add_f16 v151, v151, v160
	v_alignbit_b32 v159, s0, v170, 16
	v_pk_mul_f16 v75, 0xb08e, v75 op_sel_hi:[0,1]
	v_pk_add_f16 v146, v161, v146
	v_pk_fma_f16 v79, 0x3b47, v178, v79 op_sel:[0,0,1] op_sel_hi:[0,1,0] neg_lo:[0,1,0] neg_hi:[0,1,0]
	ds_write2_b32 v120, v158, v91 offset0:2 offset1:3
	v_pk_add_f16 v91, v164, v147
	v_pk_add_f16 v147, v159, v151
	v_pk_fma_f16 v151, 0xbbeb, v169, v75 op_sel:[0,0,1] op_sel_hi:[0,1,0]
	v_pk_add_f16 v145, v145, v88
	v_pk_add_f16 v79, v79, v146
	v_bfi_b32 v146, 0xffff, v152, v157
	v_pk_add_f16 v91, v170, v91
	v_alignbit_b32 v152, s0, v151, 16
	v_pk_fma_f16 v75, 0xbbeb, v169, v75 op_sel:[0,0,1] op_sel_hi:[0,1,0] neg_lo:[0,1,0] neg_hi:[0,1,0]
	v_pk_add_f16 v145, v145, v84
	v_pk_add_f16 v73, v73, v146
	v_bfi_b32 v146, 0xffff, v167, v166
	v_pk_add_f16 v147, v152, v147
	v_pk_add_f16 v75, v75, v79
	;; [unrolled: 1-line block ×5, first 2 shown]
	v_bfi_b32 v145, 0xffff, v174, v173
	v_fmac_f16_e32 v185, 0xba0c, v169
	v_alignbit_b32 v79, v79, v75, 16
	v_pk_add_f16 v91, v91, v76
	v_pack_b32_f16 v75, v147, v75
	v_add_f16_e32 v149, v184, v149
	v_pk_add_f16 v73, v145, v73
	v_bfi_b32 v81, 0xffff, v81, v172
	v_pk_add_f16 v91, v91, v78
	ds_write2_b32 v120, v75, v79 offset0:5 offset1:6
	v_pk_add_f16 v75, v94, v92 neg_lo:[0,1] neg_hi:[0,1]
	v_add_f16_e32 v156, v185, v156
	v_add_f16_e32 v165, v182, v165
	v_pack_b32_f16 v146, v168, v149
	v_pk_add_f16 v73, v81, v73
	v_bfi_b32 v77, 0xffff, v77, v183
	v_pk_add_f16 v79, v91, v82
	v_pk_add_f16 v81, v92, v94
	v_pk_mul_f16 v91, 0xb853, v75 op_sel_hi:[0,1]
	ds_write_b32 v120, v146 offset:16
	v_pack_b32_f16 v94, v155, v156
	v_pack_b32_f16 v145, v165, v163
	v_pk_add_f16 v73, v77, v73
	v_pk_add_f16 v77, v79, v86
	v_pk_fma_f16 v79, 0x3abb, v81, v91 op_sel:[0,0,1] op_sel_hi:[0,1,0]
	v_pk_fma_f16 v91, 0x3abb, v81, v91 op_sel:[0,0,1] op_sel_hi:[0,1,0] neg_lo:[0,0,1] neg_hi:[0,0,1]
	v_mul_f16_sdwa v146, v75, v148 dst_sel:DWORD dst_unused:UNUSED_PAD src0_sel:WORD_1 src1_sel:DWORD
	v_pack_b32_f16 v147, v153, v154
	v_pk_add_f16 v151, v88, v90 neg_lo:[0,1] neg_hi:[0,1]
	ds_write2_b32 v120, v145, v94 offset0:7 offset1:8
	v_pk_add_f16 v77, v77, v90
	v_bfi_b32 v94, 0xffff, v79, v91
	v_fmamk_f16 v145, v81, 0x36a6, v146
	ds_write2_b32 v120, v147, v73 offset0:9 offset1:10
	v_mul_f16_sdwa v73, v81, v72 dst_sel:DWORD dst_unused:UNUSED_PAD src0_sel:WORD_1 src1_sel:DWORD
	v_pk_add_f16 v88, v90, v88
	v_pk_mul_f16 v90, 0xbb47, v151 op_sel_hi:[0,1]
	v_mul_f16_sdwa v156, v151, v143 dst_sel:DWORD dst_unused:UNUSED_PAD src0_sel:WORD_1 src1_sel:DWORD
	v_pk_add_f16 v77, v77, v92
	v_pk_add_f16 v92, v74, v94
	v_add_f16_e32 v94, v74, v145
	v_fmamk_f16 v145, v75, 0x3b47, v73
	v_mul_f16_sdwa v147, v81, v144 dst_sel:DWORD dst_unused:UNUSED_PAD src0_sel:WORD_1 src1_sel:DWORD
	v_pk_fma_f16 v155, 0x36a6, v88, v90 op_sel:[0,0,1] op_sel_hi:[0,1,0]
	v_pk_fma_f16 v90, 0x36a6, v88, v90 op_sel:[0,0,1] op_sel_hi:[0,1,0] neg_lo:[0,0,1] neg_hi:[0,0,1]
	v_fmamk_f16 v158, v88, 0xb93d, v156
	v_mul_f16_sdwa v159, v88, v93 dst_sel:DWORD dst_unused:UNUSED_PAD src0_sel:WORD_1 src1_sel:DWORD
	v_mul_f16_sdwa v120, v75, v150 dst_sel:DWORD dst_unused:UNUSED_PAD src0_sel:WORD_1 src1_sel:DWORD
	v_fma_f16 v146, v81, 0x36a6, -v146
	v_add_f16_sdwa v145, v74, v145 dst_sel:DWORD dst_unused:UNUSED_PAD src0_sel:WORD_1 src1_sel:DWORD
	v_fmamk_f16 v149, v75, 0x3beb, v147
	v_bfi_b32 v157, 0xffff, v155, v90
	v_add_f16_e32 v94, v158, v94
	v_fmamk_f16 v158, v151, 0x3a0c, v159
	v_mul_f16_sdwa v160, v88, v87 dst_sel:DWORD dst_unused:UNUSED_PAD src0_sel:WORD_1 src1_sel:DWORD
	v_fmac_f16_e32 v73, 0xbb47, v75
	v_fmamk_f16 v148, v81, 0xb08e, v120
	v_add_f16_e32 v146, v74, v146
	v_mul_f16_sdwa v150, v75, v143 dst_sel:DWORD dst_unused:UNUSED_PAD src0_sel:WORD_1 src1_sel:DWORD
	v_add_f16_sdwa v149, v74, v149 dst_sel:DWORD dst_unused:UNUSED_PAD src0_sel:WORD_1 src1_sel:DWORD
	v_pk_add_f16 v92, v157, v92
	v_mul_f16_sdwa v157, v151, v171 dst_sel:DWORD dst_unused:UNUSED_PAD src0_sel:WORD_1 src1_sel:DWORD
	v_fma_f16 v156, v88, 0xb93d, -v156
	v_add_f16_e32 v145, v158, v145
	v_fmamk_f16 v158, v151, 0xb482, v160
	v_add_f16_sdwa v73, v74, v73 dst_sel:DWORD dst_unused:UNUSED_PAD src0_sel:WORD_1 src1_sel:DWORD
	v_add_f16_e32 v148, v74, v148
	v_fma_f16 v120, v81, 0xb08e, -v120
	v_fmac_f16_e32 v147, 0xbbeb, v75
	v_fmamk_f16 v152, v81, 0xb93d, v150
	v_mul_f16_sdwa v153, v81, v93 dst_sel:DWORD dst_unused:UNUSED_PAD src0_sel:WORD_1 src1_sel:DWORD
	v_fmac_f16_e32 v159, 0xba0c, v151
	v_fmamk_f16 v161, v88, 0xbbad, v157
	v_add_f16_e32 v146, v156, v146
	v_mul_f16_sdwa v156, v151, v89 dst_sel:DWORD dst_unused:UNUSED_PAD src0_sel:WORD_1 src1_sel:DWORD
	v_add_f16_e32 v149, v158, v149
	v_pk_add_f16 v158, v84, v86 neg_lo:[0,1] neg_hi:[0,1]
	v_add_f16_e32 v120, v74, v120
	v_add_f16_sdwa v147, v74, v147 dst_sel:DWORD dst_unused:UNUSED_PAD src0_sel:WORD_1 src1_sel:DWORD
	v_add_f16_e32 v152, v74, v152
	v_fmamk_f16 v154, v75, 0x3a0c, v153
	v_fma_f16 v150, v81, 0xb93d, -v150
	v_add_f16_e32 v73, v159, v73
	v_add_f16_e32 v148, v161, v148
	v_fma_f16 v157, v88, 0xbbad, -v157
	v_fmac_f16_e32 v160, 0x3482, v151
	v_fmamk_f16 v159, v88, 0xb08e, v156
	v_mul_f16_sdwa v161, v88, v144 dst_sel:DWORD dst_unused:UNUSED_PAD src0_sel:WORD_1 src1_sel:DWORD
	v_pk_add_f16 v84, v86, v84
	v_pk_mul_f16 v86, 0xbbeb, v158 op_sel_hi:[0,1]
	v_add_f16_sdwa v154, v74, v154 dst_sel:DWORD dst_unused:UNUSED_PAD src0_sel:WORD_1 src1_sel:DWORD
	v_fmac_f16_e32 v153, 0xba0c, v75
	v_add_f16_e32 v150, v74, v150
	v_add_f16_e32 v120, v157, v120
	v_add_f16_e32 v147, v160, v147
	v_add_f16_e32 v152, v159, v152
	v_fmamk_f16 v157, v151, 0xbbeb, v161
	v_pk_fma_f16 v159, 0xb08e, v84, v86 op_sel:[0,0,1] op_sel_hi:[0,1,0]
	v_pk_fma_f16 v86, 0xb08e, v84, v86 op_sel:[0,0,1] op_sel_hi:[0,1,0] neg_lo:[0,0,1] neg_hi:[0,0,1]
	v_mul_f16_sdwa v160, v158, v171 dst_sel:DWORD dst_unused:UNUSED_PAD src0_sel:WORD_1 src1_sel:DWORD
	v_fma_f16 v156, v88, 0xb08e, -v156
	v_add_f16_sdwa v153, v74, v153 dst_sel:DWORD dst_unused:UNUSED_PAD src0_sel:WORD_1 src1_sel:DWORD
	v_add_f16_e32 v154, v157, v154
	v_fmac_f16_e32 v161, 0x3beb, v151
	v_bfi_b32 v157, 0xffff, v159, v86
	v_fmamk_f16 v162, v84, 0xbbad, v160
	v_add_f16_e32 v150, v156, v150
	v_mul_f16_sdwa v156, v84, v87 dst_sel:DWORD dst_unused:UNUSED_PAD src0_sel:WORD_1 src1_sel:DWORD
	v_add_f16_e32 v153, v161, v153
	v_pk_add_f16 v92, v157, v92
	v_add_f16_e32 v94, v162, v94
	v_mul_f16_sdwa v157, v158, v83 dst_sel:DWORD dst_unused:UNUSED_PAD src0_sel:WORD_1 src1_sel:DWORD
	v_fmamk_f16 v161, v158, 0xb482, v156
	v_mul_f16_sdwa v162, v84, v72 dst_sel:DWORD dst_unused:UNUSED_PAD src0_sel:WORD_1 src1_sel:DWORD
	v_fma_f16 v160, v84, 0xbbad, -v160
	v_fmac_f16_e32 v156, 0x3482, v158
	v_fmamk_f16 v163, v84, 0x36a6, v157
	v_add_f16_e32 v145, v161, v145
	v_fmamk_f16 v161, v158, 0xbb47, v162
	v_add_f16_e32 v146, v160, v146
	v_add_f16_e32 v73, v156, v73
	v_mul_f16_sdwa v156, v158, v179 dst_sel:DWORD dst_unused:UNUSED_PAD src0_sel:WORD_1 src1_sel:DWORD
	v_pk_add_f16 v160, v80, v82 neg_lo:[0,1] neg_hi:[0,1]
	v_add_f16_e32 v148, v163, v148
	v_add_f16_e32 v149, v161, v149
	v_fma_f16 v157, v84, 0x36a6, -v157
	v_fmamk_f16 v161, v84, 0x3abb, v156
	v_mul_f16_sdwa v163, v84, v85 dst_sel:DWORD dst_unused:UNUSED_PAD src0_sel:WORD_1 src1_sel:DWORD
	v_pk_add_f16 v80, v82, v80
	v_pk_mul_f16 v82, 0xba0c, v160 op_sel_hi:[0,1]
	v_fmac_f16_e32 v162, 0x3b47, v158
	v_add_f16_e32 v120, v157, v120
	v_add_f16_e32 v152, v161, v152
	v_fmamk_f16 v157, v158, 0x3853, v163
	v_pk_fma_f16 v161, 0xb93d, v80, v82 op_sel:[0,0,1] op_sel_hi:[0,1,0]
	v_pk_fma_f16 v82, 0xb93d, v80, v82 op_sel:[0,0,1] op_sel_hi:[0,1,0] neg_lo:[0,0,1] neg_hi:[0,0,1]
	v_mul_f16_sdwa v89, v160, v89 dst_sel:DWORD dst_unused:UNUSED_PAD src0_sel:WORD_1 src1_sel:DWORD
	v_add_f16_e32 v147, v162, v147
	v_fma_f16 v156, v84, 0x3abb, -v156
	v_add_f16_e32 v154, v157, v154
	v_bfi_b32 v157, 0xffff, v161, v82
	v_fmamk_f16 v162, v80, 0xb08e, v89
	v_mul_f16_sdwa v144, v80, v144 dst_sel:DWORD dst_unused:UNUSED_PAD src0_sel:WORD_1 src1_sel:DWORD
	v_fmac_f16_e32 v163, 0xb853, v158
	v_add_f16_e32 v150, v156, v150
	v_pk_add_f16 v92, v157, v92
	v_add_f16_e32 v94, v162, v94
	v_mul_f16_sdwa v156, v160, v179 dst_sel:DWORD dst_unused:UNUSED_PAD src0_sel:WORD_1 src1_sel:DWORD
	v_fmamk_f16 v157, v160, 0xbbeb, v144
	v_mul_f16_sdwa v162, v80, v85 dst_sel:DWORD dst_unused:UNUSED_PAD src0_sel:WORD_1 src1_sel:DWORD
	v_add_f16_e32 v153, v163, v153
	v_fma_f16 v89, v80, 0xb08e, -v89
	v_fmac_f16_e32 v144, 0x3beb, v160
	v_fmamk_f16 v163, v80, 0x3abb, v156
	v_add_f16_e32 v145, v157, v145
	v_fmamk_f16 v157, v160, 0x3853, v162
	v_add_f16_e32 v89, v89, v146
	v_add_f16_e32 v73, v144, v73
	;; [unrolled: 1-line block ×3, first 2 shown]
	v_mul_f16_sdwa v146, v160, v181 dst_sel:DWORD dst_unused:UNUSED_PAD src0_sel:WORD_1 src1_sel:DWORD
	v_add_f16_e32 v148, v157, v149
	v_fma_f16 v149, v80, 0x3abb, -v156
	v_pk_add_f16 v156, v76, v78 neg_lo:[0,1] neg_hi:[0,1]
	v_fmac_f16_e32 v162, 0xb853, v160
	v_fmamk_f16 v157, v80, 0xbbad, v146
	v_mul_f16_sdwa v87, v80, v87 dst_sel:DWORD dst_unused:UNUSED_PAD src0_sel:WORD_1 src1_sel:DWORD
	v_pk_add_f16 v76, v78, v76
	v_pk_mul_f16 v78, 0xb482, v156 op_sel_hi:[0,1]
	v_add_f16_e32 v120, v149, v120
	v_add_f16_e32 v147, v162, v147
	;; [unrolled: 1-line block ×3, first 2 shown]
	v_fmamk_f16 v152, v160, 0x3482, v87
	v_pk_fma_f16 v157, 0xbbad, v76, v78 op_sel:[0,0,1] op_sel_hi:[0,1,0]
	v_pk_fma_f16 v78, 0xbbad, v76, v78 op_sel:[0,0,1] op_sel_hi:[0,1,0] neg_lo:[0,0,1] neg_hi:[0,0,1]
	v_fma_f16 v146, v80, 0xbbad, -v146
	v_mul_f16_sdwa v162, v156, v176 dst_sel:DWORD dst_unused:UNUSED_PAD src0_sel:WORD_1 src1_sel:DWORD
	v_add_f16_e32 v152, v152, v154
	v_mul_f16_sdwa v85, v76, v85 dst_sel:DWORD dst_unused:UNUSED_PAD src0_sel:WORD_1 src1_sel:DWORD
	v_bfi_b32 v154, 0xffff, v157, v78
	v_add_f16_e32 v146, v146, v150
	v_fmamk_f16 v150, v76, 0x3abb, v162
	v_mul_f16_sdwa v143, v156, v143 dst_sel:DWORD dst_unused:UNUSED_PAD src0_sel:WORD_1 src1_sel:DWORD
	v_mul_f16_sdwa v93, v76, v93 dst_sel:DWORD dst_unused:UNUSED_PAD src0_sel:WORD_1 src1_sel:DWORD
	v_pk_add_f16 v92, v154, v92
	v_fmac_f16_e32 v87, 0xb482, v160
	v_add_f16_e32 v94, v150, v94
	v_fmamk_f16 v150, v156, 0xb853, v85
	v_fmac_f16_e32 v85, 0x3853, v156
	v_fmamk_f16 v154, v76, 0xb93d, v143
	v_mul_f16_sdwa v72, v76, v72 dst_sel:DWORD dst_unused:UNUSED_PAD src0_sel:WORD_1 src1_sel:DWORD
	v_pk_mul_f16 v81, 0xbbad, v81 op_sel_hi:[0,1]
	v_add_f16_e32 v87, v87, v153
	v_add_f16_e32 v73, v85, v73
	;; [unrolled: 1-line block ×3, first 2 shown]
	v_fmamk_f16 v144, v156, 0x3a0c, v93
	v_fmac_f16_e32 v93, 0xba0c, v156
	ds_write2_b32 v122, v77, v92 offset1:1
	v_pk_mul_f16 v77, 0x3abb, v88 op_sel_hi:[0,1]
	v_add_f16_e32 v145, v150, v145
	v_add_f16_e32 v144, v144, v148
	;; [unrolled: 1-line block ×3, first 2 shown]
	v_fmamk_f16 v147, v156, 0xbb47, v72
	v_fmac_f16_e32 v72, 0x3b47, v156
	v_pk_fma_f16 v148, 0xb482, v75, v81 op_sel:[0,0,1] op_sel_hi:[0,1,0]
	v_pk_fma_f16 v75, 0xb482, v75, v81 op_sel:[0,0,1] op_sel_hi:[0,1,0] neg_lo:[0,1,0] neg_hi:[0,1,0]
	v_pk_fma_f16 v81, 0x3853, v151, v77 op_sel:[0,0,1] op_sel_hi:[0,1,0]
	v_pk_mul_f16 v84, 0xb93d, v84 op_sel_hi:[0,1]
	v_add_f16_e32 v72, v72, v87
	v_alignbit_b32 v87, s0, v148, 16
	v_pack_b32_f16 v85, v85, v144
	v_pack_b32_f16 v88, v94, v145
	v_alignbit_b32 v92, s0, v74, 16
	v_pk_add_f16 v75, v74, v75 op_sel:[1,0] op_sel_hi:[0,1]
	v_pk_add_f16 v87, v74, v87
	v_alignbit_b32 v94, s0, v81, 16
	v_pk_fma_f16 v77, 0x3853, v151, v77 op_sel:[0,0,1] op_sel_hi:[0,1,0] neg_lo:[0,1,0] neg_hi:[0,1,0]
	v_pk_fma_f16 v144, 0xba0c, v158, v84 op_sel:[0,0,1] op_sel_hi:[0,1,0]
	v_pk_mul_f16 v80, 0x36a6, v80 op_sel_hi:[0,1]
	v_fma_f16 v143, v76, 0xb93d, -v143
	v_mul_f16_sdwa v83, v156, v83 dst_sel:DWORD dst_unused:UNUSED_PAD src0_sel:WORD_1 src1_sel:DWORD
	v_pk_add_f16 v92, v92, v148
	v_pk_add_f16 v87, v94, v87
	;; [unrolled: 1-line block ×3, first 2 shown]
	v_alignbit_b32 v77, s0, v144, 16
	v_pk_fma_f16 v84, 0xba0c, v158, v84 op_sel:[0,0,1] op_sel_hi:[0,1,0] neg_lo:[0,1,0] neg_hi:[0,1,0]
	v_pk_fma_f16 v94, 0x3b47, v160, v80 op_sel:[0,0,1] op_sel_hi:[0,1,0]
	v_bfi_b32 v79, 0xffff, v91, v79
	v_fma_f16 v153, v76, 0x3abb, -v162
	v_add_f16_e32 v120, v143, v120
	v_fmamk_f16 v143, v76, 0x36a6, v83
	v_fma_f16 v83, v76, 0x36a6, -v83
	v_pk_add_f16 v81, v81, v92
	v_pk_add_f16 v77, v77, v87
	v_pk_add_f16 v75, v84, v75
	v_alignbit_b32 v84, s0, v94, 16
	v_pk_mul_f16 v76, 0xb08e, v76 op_sel_hi:[0,1]
	v_pk_add_f16 v74, v74, v79
	v_bfi_b32 v79, 0xffff, v90, v155
	v_pk_add_f16 v81, v144, v81
	v_pk_fma_f16 v80, 0x3b47, v160, v80 op_sel:[0,0,1] op_sel_hi:[0,1,0] neg_lo:[0,1,0] neg_hi:[0,1,0]
	v_pk_add_f16 v77, v84, v77
	v_pk_fma_f16 v84, 0xbbeb, v156, v76 op_sel:[0,0,1] op_sel_hi:[0,1,0]
	v_pk_add_f16 v74, v79, v74
	v_bfi_b32 v79, 0xffff, v86, v159
	v_pk_add_f16 v75, v80, v75
	v_pk_fma_f16 v76, 0xbbeb, v156, v76 op_sel:[0,0,1] op_sel_hi:[0,1,0] neg_lo:[0,1,0] neg_hi:[0,1,0]
	v_pk_add_f16 v80, v94, v81
	v_alignbit_b32 v81, s0, v84, 16
	v_pk_add_f16 v74, v79, v74
	v_bfi_b32 v79, 0xffff, v82, v161
	v_add_f16_e32 v143, v143, v149
	v_add_f16_e32 v147, v147, v152
	v_pk_add_f16 v75, v76, v75
	v_pk_add_f16 v76, v84, v80
	;; [unrolled: 1-line block ×3, first 2 shown]
	v_add_f16_e32 v83, v83, v146
	v_add_f16_e32 v89, v153, v89
	v_pk_add_f16 v74, v79, v74
	v_bfi_b32 v78, 0xffff, v78, v157
	v_pack_b32_f16 v80, v143, v147
	v_alignbit_b32 v76, v76, v75, 16
	v_pack_b32_f16 v75, v77, v75
	v_pack_b32_f16 v77, v120, v93
	;; [unrolled: 1-line block ×3, first 2 shown]
	v_pk_add_f16 v74, v78, v74
	v_pack_b32_f16 v73, v89, v73
	ds_write2_b32 v122, v88, v85 offset0:2 offset1:3
	ds_write_b32 v122, v80 offset:16
	ds_write2_b32 v122, v75, v76 offset0:5 offset1:6
	ds_write2_b32 v122, v72, v77 offset0:7 offset1:8
	;; [unrolled: 1-line block ×3, first 2 shown]
	s_and_saveexec_b32 s0, vcc_lo
	s_cbranch_execz .LBB0_13
; %bb.12:
	v_add_f16_sdwa v72, v126, v140 dst_sel:DWORD dst_unused:UNUSED_PAD src0_sel:WORD_1 src1_sel:DWORD
	v_sub_f16_e32 v73, v70, v121
	v_add_f16_e32 v74, v123, v142
	v_sub_f16_e32 v75, v67, v64
	v_add_f16_e32 v76, v124, v125
	v_mul_f16_e32 v77, 0xbbad, v72
	v_sub_f16_e32 v78, v68, v63
	v_mul_f16_e32 v81, 0x3abb, v74
	v_sub_f16_sdwa v84, v140, v126 dst_sel:DWORD dst_unused:UNUSED_PAD src0_sel:DWORD src1_sel:WORD_1
	v_mul_f16_e32 v85, 0xb93d, v76
	v_fmamk_f16 v82, v73, 0x3482, v77
	v_add_f16_e32 v83, v121, v70
	v_fmamk_f16 v86, v75, 0xb853, v81
	v_sub_f16_e32 v87, v142, v123
	v_mul_f16_e32 v89, 0xb482, v84
	v_add_f16_e32 v82, v141, v82
	v_fmamk_f16 v90, v78, 0x3a0c, v85
	v_add_f16_e32 v122, v63, v68
	v_mul_f16_e32 v91, 0x3853, v87
	v_fmamk_f16 v92, v83, 0xbbad, v89
	v_add_f16_e32 v82, v86, v82
	v_add_f16_e32 v86, v64, v67
	v_sub_f16_e32 v145, v129, v128
	v_add_f16_e32 v79, v128, v129
	v_add_f16_e32 v92, v71, v92
	;; [unrolled: 1-line block ×3, first 2 shown]
	v_sub_f16_e32 v90, v125, v124
	v_fmamk_f16 v120, v86, 0x3abb, v91
	v_add_f16_e32 v147, v66, v69
	v_mul_f16_e32 v148, 0x3b47, v145
	v_sub_f16_e32 v80, v69, v66
	v_mul_f16_e32 v143, 0xba0c, v90
	v_add_f16_e32 v92, v120, v92
	v_mul_f16_e32 v88, 0x36a6, v79
	v_add_f16_e32 v94, v130, v131
	v_mul_f16_e32 v149, 0xb93d, v72
	v_fmamk_f16 v120, v122, 0xb93d, v143
	v_sub_f16_e32 v146, v126, v65
	v_fmamk_f16 v93, v80, 0xbb47, v88
	v_mul_f16_e32 v144, 0xb08e, v94
	v_mul_f16_e32 v150, 0xb08e, v74
	v_add_f16_e32 v92, v120, v92
	v_fmamk_f16 v120, v147, 0x36a6, v148
	v_add_f16_e32 v82, v93, v82
	v_fmamk_f16 v93, v146, 0x3beb, v144
	v_fmamk_f16 v154, v75, 0xbbeb, v150
	v_mul_f16_e32 v155, 0x3abb, v76
	v_add_f16_e32 v92, v120, v92
	v_fmamk_f16 v120, v73, 0x3a0c, v149
	v_add_f16_e32 v82, v93, v82
	v_sub_f16_e32 v93, v131, v130
	v_mul_f16_e32 v159, 0xbbad, v79
	v_add_f16_e32 v151, v65, v126
	v_add_f16_e32 v120, v141, v120
	v_mul_f16_e32 v153, 0xba0c, v84
	v_mul_f16_e32 v152, 0xbbeb, v93
	;; [unrolled: 1-line block ×4, first 2 shown]
	v_add_f16_e32 v120, v154, v120
	v_fmamk_f16 v154, v78, 0x3853, v155
	v_fmamk_f16 v156, v151, 0xb08e, v152
	v_fmamk_f16 v157, v83, 0xb93d, v153
	v_mul_f16_e32 v164, 0xb08e, v72
	v_fmamk_f16 v160, v86, 0xb08e, v158
	v_add_f16_e32 v120, v154, v120
	v_fmamk_f16 v154, v80, 0x3482, v159
	v_add_f16_e32 v157, v71, v157
	v_mul_f16_e32 v161, 0xb853, v90
	v_add_f16_e32 v92, v156, v92
	v_mul_f16_e32 v156, 0xbbad, v74
	v_add_f16_e32 v120, v154, v120
	v_fmamk_f16 v154, v146, 0xbb47, v162
	v_add_f16_e32 v157, v160, v157
	v_fmamk_f16 v160, v122, 0x3abb, v161
	v_mul_f16_e32 v163, 0xb482, v145
	v_mul_f16_e32 v165, 0xbbeb, v84
	v_add_f16_e32 v120, v154, v120
	v_fmamk_f16 v154, v73, 0x3beb, v164
	v_fmamk_f16 v166, v75, 0xb482, v156
	v_mul_f16_e32 v167, 0x36a6, v76
	v_add_f16_e32 v157, v160, v157
	v_fmamk_f16 v160, v147, 0xbbad, v163
	v_add_f16_e32 v154, v141, v154
	v_fmamk_f16 v169, v83, 0xb08e, v165
	v_mul_f16_e32 v170, 0x3482, v87
	v_mul_f16_e32 v171, 0x3abb, v79
	v_add_f16_e32 v157, v160, v157
	v_add_f16_e32 v154, v166, v154
	v_fmamk_f16 v166, v78, 0xbb47, v167
	v_mul_f16_e32 v160, 0x3b47, v93
	v_add_f16_e32 v169, v71, v169
	v_fmamk_f16 v172, v86, 0xbbad, v170
	v_mul_f16_e32 v173, 0x3b47, v90
	v_add_f16_e32 v154, v166, v154
	v_fmamk_f16 v166, v80, 0x3853, v171
	v_fmamk_f16 v168, v151, 0x36a6, v160
	v_mul_f16_e32 v174, 0xb93d, v94
	v_add_f16_e32 v169, v172, v169
	v_fmamk_f16 v172, v122, 0x36a6, v173
	v_mul_f16_e32 v175, 0xb853, v145
	v_add_f16_e32 v154, v166, v154
	v_mul_f16_e32 v166, 0x36a6, v72
	v_add_f16_e32 v70, v70, v71
	v_fmamk_f16 v176, v146, 0x3a0c, v174
	v_add_f16_e32 v169, v172, v169
	v_fmamk_f16 v172, v147, 0x3abb, v175
	;; [unrolled: 2-line block ×3, first 2 shown]
	v_mul_f16_e32 v177, 0xb93d, v74
	v_add_f16_e32 v140, v140, v141
	v_add_f16_e32 v67, v67, v70
	;; [unrolled: 1-line block ×4, first 2 shown]
	v_mul_f16_e32 v172, 0xbb47, v84
	v_add_f16_e32 v168, v141, v168
	v_fmamk_f16 v176, v75, 0x3a0c, v177
	v_mul_f16_e32 v178, 0xbbad, v76
	v_mul_f16_e32 v84, 0xb853, v84
	v_add_f16_e32 v70, v142, v140
	v_add_f16_e32 v67, v68, v67
	v_mul_f16_e32 v181, 0xba0c, v87
	v_add_f16_e32 v168, v176, v168
	v_fmamk_f16 v176, v78, 0xb482, v178
	v_mul_f16_e32 v182, 0xb08e, v79
	v_fmamk_f16 v140, v83, 0x3abb, v84
	v_mul_f16_e32 v87, 0xbb47, v87
	v_add_f16_e32 v68, v125, v70
	v_add_f16_e32 v67, v69, v67
	v_mul_f16_e32 v184, 0x3482, v90
	v_add_f16_e32 v168, v176, v168
	v_fmamk_f16 v176, v80, 0xbbeb, v182
	v_add_f16_e32 v70, v71, v140
	v_fmamk_f16 v125, v86, 0x36a6, v87
	v_mul_f16_e32 v90, 0xbbeb, v90
	v_add_f16_e32 v68, v129, v68
	v_add_f16_e32 v67, v126, v67
	;; [unrolled: 1-line block ×3, first 2 shown]
	v_mul_f16_e32 v176, 0x3abb, v94
	v_mul_f16_e32 v69, 0xbbad, v94
	v_add_f16_e32 v70, v125, v70
	v_fmamk_f16 v94, v122, 0xb08e, v90
	v_add_f16_e32 v68, v131, v68
	v_mul_f16_e32 v129, 0xba0c, v145
	v_add_f16_e32 v65, v65, v67
	v_mul_f16_e32 v179, 0xba0c, v93
	v_mul_f16_e32 v187, 0x3853, v93
	v_add_f16_e32 v70, v94, v70
	v_add_f16_e32 v67, v130, v68
	v_fmamk_f16 v68, v147, 0xb93d, v129
	v_mul_f16_e32 v93, 0xb482, v93
	v_add_f16_e32 v65, v66, v65
	v_fmac_f16_e32 v77, 0xb482, v73
	v_add_f16_e32 v66, v128, v67
	v_add_f16_e32 v68, v68, v70
	v_fmamk_f16 v70, v151, 0xbbad, v93
	v_add_f16_e32 v63, v63, v65
	v_add_f16_e32 v67, v141, v77
	v_fmac_f16_e32 v81, 0x3853, v75
	v_add_f16_e32 v65, v124, v66
	v_fmac_f16_e32 v85, 0xba0c, v78
	v_add_f16_e32 v63, v64, v63
	v_add_f16_e32 v64, v70, v68
	v_fma_f16 v68, v83, 0xbbad, -v89
	v_fma_f16 v70, v86, 0x3abb, -v91
	v_add_f16_e32 v66, v81, v67
	v_fmac_f16_e32 v88, 0x3b47, v80
	v_fmamk_f16 v180, v83, 0x36a6, v172
	v_add_f16_e32 v68, v71, v68
	v_fmamk_f16 v183, v86, 0xb93d, v181
	v_add_f16_e32 v66, v85, v66
	v_fma_f16 v81, v83, 0xb93d, -v153
	v_add_f16_e32 v180, v71, v180
	v_add_f16_e32 v68, v70, v68
	v_fma_f16 v70, v122, 0xb93d, -v143
	v_add_f16_e32 v66, v88, v66
	v_fma_f16 v88, v86, 0xbbad, -v170
	v_add_f16_e32 v180, v183, v180
	v_fmamk_f16 v183, v122, 0xbbad, v184
	v_add_f16_e32 v68, v70, v68
	v_fma_f16 v70, v147, 0x36a6, -v148
	v_mul_f16_e32 v186, 0x3beb, v145
	v_mul_f16_e32 v72, 0x3abb, v72
	v_add_f16_e32 v81, v71, v81
	v_fma_f16 v85, v86, 0xb08e, -v158
	v_add_f16_e32 v68, v70, v68
	v_fma_f16 v70, v151, 0xb08e, -v152
	v_add_f16_e32 v180, v183, v180
	v_fmamk_f16 v183, v147, 0xb08e, v186
	v_fmamk_f16 v188, v73, 0x3853, v72
	v_mul_f16_e32 v74, 0x36a6, v74
	v_add_f16_e32 v68, v70, v68
	v_fma_f16 v70, v83, 0xb08e, -v165
	v_add_f16_e32 v81, v85, v81
	v_fma_f16 v85, v122, 0x3abb, -v161
	v_fmamk_f16 v185, v151, 0xb93d, v179
	v_add_f16_e32 v180, v183, v180
	v_add_f16_e32 v70, v71, v70
	v_fmamk_f16 v183, v151, 0x3abb, v187
	v_add_f16_e32 v188, v141, v188
	v_fmamk_f16 v190, v75, 0x3b47, v74
	v_mul_f16_e32 v76, 0xb08e, v76
	v_add_f16_e32 v70, v88, v70
	v_fma_f16 v88, v122, 0x36a6, -v173
	v_fmac_f16_e32 v149, 0xba0c, v73
	v_add_f16_e32 v81, v85, v81
	v_fma_f16 v85, v147, 0xbbad, -v163
	v_fmac_f16_e32 v164, 0xbbeb, v73
	;; [unrolled: 3-line block ×3, first 2 shown]
	v_fmac_f16_e32 v72, 0xb853, v73
	v_fma_f16 v73, v83, 0x3abb, -v84
	v_add_f16_e32 v169, v185, v169
	v_add_f16_e32 v70, v88, v70
	v_fma_f16 v88, v151, 0xb93d, -v179
	v_add_f16_e32 v180, v183, v180
	v_add_f16_e32 v183, v190, v188
	v_fmamk_f16 v185, v78, 0x3beb, v76
	v_mul_f16_e32 v79, 0xb93d, v79
	v_add_f16_e32 v70, v88, v70
	v_fma_f16 v88, v83, 0x36a6, -v172
	v_add_f16_e32 v77, v141, v149
	v_fmac_f16_e32 v150, 0x3beb, v75
	v_add_f16_e32 v81, v85, v81
	v_add_f16_e32 v85, v141, v164
	v_fmac_f16_e32 v156, 0x3482, v75
	v_add_f16_e32 v91, v141, v166
	v_fmac_f16_e32 v177, 0xba0c, v75
	v_add_f16_e32 v83, v71, v88
	v_fma_f16 v84, v86, 0xb93d, -v181
	v_add_f16_e32 v72, v141, v72
	v_fmac_f16_e32 v74, 0xbb47, v75
	v_add_f16_e32 v71, v71, v73
	v_fma_f16 v73, v86, 0x36a6, -v87
	v_add_f16_e32 v183, v185, v183
	v_fmamk_f16 v185, v80, 0x3a0c, v79
	v_add_f16_e32 v77, v150, v77
	v_fmac_f16_e32 v155, 0xb853, v78
	v_add_f16_e32 v85, v156, v85
	v_fmac_f16_e32 v167, 0x3b47, v78
	;; [unrolled: 2-line block ×3, first 2 shown]
	v_add_f16_e32 v75, v84, v83
	v_fma_f16 v83, v122, 0xbbad, -v184
	v_add_f16_e32 v72, v74, v72
	v_fmac_f16_e32 v76, 0xbbeb, v78
	v_add_f16_e32 v71, v73, v71
	v_fma_f16 v73, v122, 0xb08e, -v90
	v_add_f16_e32 v142, v185, v183
	v_fmamk_f16 v125, v146, 0x3482, v69
	v_add_f16_e32 v65, v123, v65
	v_add_f16_e32 v77, v155, v77
	v_fmac_f16_e32 v159, 0xb482, v80
	v_fma_f16 v89, v151, 0x36a6, -v160
	v_add_f16_e32 v85, v167, v85
	v_fmac_f16_e32 v171, 0xb853, v80
	v_add_f16_e32 v91, v178, v91
	v_fmac_f16_e32 v182, 0x3beb, v80
	v_add_f16_e32 v74, v83, v75
	v_fma_f16 v75, v147, 0xb08e, -v186
	v_add_f16_e32 v72, v76, v72
	v_fmac_f16_e32 v79, 0xba0c, v80
	v_add_f16_e32 v71, v73, v71
	v_fma_f16 v73, v147, 0xb93d, -v129
	v_fmamk_f16 v189, v146, 0xb853, v176
	v_add_f16_e32 v67, v125, v142
	v_add_f16_e32 v63, v121, v63
	v_add_f16_sdwa v65, v126, v65 dst_sel:DWORD dst_unused:UNUSED_PAD src0_sel:WORD_1 src1_sel:DWORD
	v_fmac_f16_e32 v144, 0xbbeb, v146
	v_add_f16_e32 v77, v159, v77
	v_fmac_f16_e32 v162, 0x3b47, v146
	v_add_f16_e32 v85, v171, v85
	;; [unrolled: 2-line block ×3, first 2 shown]
	v_add_f16_e32 v89, v182, v91
	v_fmac_f16_e32 v176, 0x3853, v146
	v_add_f16_e32 v74, v75, v74
	v_fma_f16 v75, v151, 0x3abb, -v187
	v_add_f16_e32 v72, v79, v72
	v_fmac_f16_e32 v69, 0xb482, v146
	v_add_f16_e32 v71, v73, v71
	v_fma_f16 v73, v151, 0xbbad, -v93
	v_add_f16_e32 v168, v189, v168
	v_lshlrev_b32_e32 v76, 2, v127
	v_pack_b32_f16 v64, v64, v67
	v_pack_b32_f16 v63, v63, v65
	v_add_f16_e32 v66, v144, v66
	v_add_f16_e32 v77, v162, v77
	;; [unrolled: 1-line block ×7, first 2 shown]
	ds_write2_b32 v76, v63, v64 offset1:1
	v_pack_b32_f16 v63, v169, v154
	v_pack_b32_f16 v64, v180, v168
	;; [unrolled: 1-line block ×9, first 2 shown]
	ds_write2_b32 v76, v64, v63 offset0:2 offset1:3
	ds_write2_b32 v76, v73, v72 offset0:4 offset1:5
	;; [unrolled: 1-line block ×4, first 2 shown]
	ds_write_b32 v76, v68 offset:40
.LBB0_13:
	s_or_b32 exec_lo, exec_lo, s0
	v_add_nc_u32_e32 v74, 0x200, v95
	v_add_nc_u32_e32 v71, 0x800, v95
	s_waitcnt lgkmcnt(0)
	s_barrier
	buffer_gl0_inv
	ds_read2_b32 v[65:66], v95 offset1:55
	ds_read2_b32 v[63:64], v74 offset0:92 offset1:147
	ds_read2_b32 v[80:81], v71 offset0:38 offset1:93
	v_add_nc_u32_e32 v70, 0xc00, v95
	v_add_nc_u32_e32 v69, 0x1000, v95
	;; [unrolled: 1-line block ×3, first 2 shown]
	ds_read2_b32 v[82:83], v70 offset0:2 offset1:57
	ds_read2_b32 v[84:85], v69 offset0:76 offset1:131
	;; [unrolled: 1-line block ×6, first 2 shown]
	v_add_nc_u32_e32 v73, 0xe00, v95
	ds_read2_b32 v[92:93], v69 offset0:186 offset1:241
	ds_read2_b32 v[120:121], v72 offset0:184 offset1:239
	;; [unrolled: 1-line block ×3, first 2 shown]
	ds_read_b32 v127, v95 offset:5280
	s_waitcnt lgkmcnt(0)
	s_barrier
	buffer_gl0_inv
	s_mov_b32 s4, 0x4a19b16e
	s_mov_b32 s5, 0x3f47d4ce
	s_mul_i32 s12, s8, 0xfffffb55
	v_lshrrev_b32_e32 v94, 16, v64
	v_lshrrev_b32_e32 v124, 16, v80
	;; [unrolled: 1-line block ×5, first 2 shown]
	v_mul_f16_sdwa v148, v16, v94 dst_sel:DWORD dst_unused:UNUSED_PAD src0_sel:WORD_1 src1_sel:DWORD
	v_lshrrev_b32_e32 v129, 16, v81
	v_mul_f16_sdwa v153, v17, v124 dst_sel:DWORD dst_unused:UNUSED_PAD src0_sel:WORD_1 src1_sel:DWORD
	v_mul_f16_sdwa v154, v17, v80 dst_sel:DWORD dst_unused:UNUSED_PAD src0_sel:WORD_1 src1_sel:DWORD
	;; [unrolled: 1-line block ×3, first 2 shown]
	v_fmac_f16_e32 v148, v16, v64
	v_mul_f16_sdwa v64, v16, v64 dst_sel:DWORD dst_unused:UNUSED_PAD src0_sel:WORD_1 src1_sel:DWORD
	v_lshrrev_b32_e32 v130, 16, v88
	v_lshrrev_b32_e32 v131, 16, v85
	v_mul_f16_sdwa v156, v18, v83 dst_sel:DWORD dst_unused:UNUSED_PAD src0_sel:WORD_1 src1_sel:DWORD
	v_fmac_f16_e32 v153, v17, v80
	v_fma_f16 v16, v16, v94, -v64
	v_fma_f16 v17, v17, v124, -v154
	v_fmac_f16_e32 v155, v18, v83
	v_mul_f16_sdwa v64, v19, v126 dst_sel:DWORD dst_unused:UNUSED_PAD src0_sel:WORD_1 src1_sel:DWORD
	v_mul_f16_sdwa v80, v19, v84 dst_sel:DWORD dst_unused:UNUSED_PAD src0_sel:WORD_1 src1_sel:DWORD
	;; [unrolled: 1-line block ×5, first 2 shown]
	v_lshrrev_b32_e32 v140, 16, v87
	v_lshrrev_b32_e32 v141, 16, v90
	;; [unrolled: 1-line block ×3, first 2 shown]
	v_fmac_f16_e32 v64, v19, v84
	v_fma_f16 v19, v19, v126, -v80
	v_fmac_f16_e32 v83, v12, v86
	v_fma_f16 v12, v12, v128, -v94
	v_fmac_f16_e32 v124, v13, v81
	v_mul_f16_sdwa v80, v13, v81 dst_sel:DWORD dst_unused:UNUSED_PAD src0_sel:WORD_1 src1_sel:DWORD
	v_mul_f16_sdwa v81, v14, v130 dst_sel:DWORD dst_unused:UNUSED_PAD src0_sel:WORD_1 src1_sel:DWORD
	;; [unrolled: 1-line block ×5, first 2 shown]
	v_lshrrev_b32_e32 v144, 16, v120
	v_fma_f16 v13, v13, v129, -v80
	v_fmac_f16_e32 v81, v14, v88
	v_fma_f16 v14, v14, v130, -v84
	v_fmac_f16_e32 v86, v15, v85
	v_fma_f16 v15, v15, v131, -v94
	v_mul_f16_sdwa v80, v8, v140 dst_sel:DWORD dst_unused:UNUSED_PAD src0_sel:WORD_1 src1_sel:DWORD
	v_mul_f16_sdwa v84, v8, v87 dst_sel:DWORD dst_unused:UNUSED_PAD src0_sel:WORD_1 src1_sel:DWORD
	;; [unrolled: 1-line block ×4, first 2 shown]
	v_lshrrev_b32_e32 v143, 16, v92
	v_lshrrev_b32_e32 v145, 16, v91
	;; [unrolled: 1-line block ×3, first 2 shown]
	v_mul_f16_sdwa v88, v9, v90 dst_sel:DWORD dst_unused:UNUSED_PAD src0_sel:WORD_1 src1_sel:DWORD
	v_fmac_f16_e32 v80, v8, v87
	v_fma_f16 v84, v8, v140, -v84
	v_fmac_f16_e32 v85, v9, v90
	v_fmac_f16_e32 v94, v10, v89
	v_mul_f16_sdwa v8, v10, v89 dst_sel:DWORD dst_unused:UNUSED_PAD src0_sel:WORD_1 src1_sel:DWORD
	v_mul_f16_sdwa v89, v4, v144 dst_sel:DWORD dst_unused:UNUSED_PAD src0_sel:WORD_1 src1_sel:DWORD
	v_mul_f16_sdwa v90, v4, v120 dst_sel:DWORD dst_unused:UNUSED_PAD src0_sel:WORD_1 src1_sel:DWORD
	v_lshrrev_b32_e32 v147, 16, v93
	v_lshrrev_b32_e32 v149, 16, v121
	;; [unrolled: 1-line block ×3, first 2 shown]
	v_fma_f16 v18, v18, v125, -v156
	v_fma_f16 v87, v9, v141, -v88
	v_mul_f16_sdwa v88, v11, v143 dst_sel:DWORD dst_unused:UNUSED_PAD src0_sel:WORD_1 src1_sel:DWORD
	v_mul_f16_sdwa v9, v11, v92 dst_sel:DWORD dst_unused:UNUSED_PAD src0_sel:WORD_1 src1_sel:DWORD
	v_fma_f16 v125, v10, v142, -v8
	v_fmac_f16_e32 v89, v4, v120
	v_fma_f16 v90, v4, v144, -v90
	v_mul_f16_sdwa v120, v5, v145 dst_sel:DWORD dst_unused:UNUSED_PAD src0_sel:WORD_1 src1_sel:DWORD
	v_mul_f16_sdwa v4, v5, v91 dst_sel:DWORD dst_unused:UNUSED_PAD src0_sel:WORD_1 src1_sel:DWORD
	;; [unrolled: 1-line block ×4, first 2 shown]
	v_fmac_f16_e32 v88, v11, v92
	v_fma_f16 v92, v11, v143, -v9
	v_mul_f16_sdwa v128, v7, v147 dst_sel:DWORD dst_unused:UNUSED_PAD src0_sel:WORD_1 src1_sel:DWORD
	v_fmac_f16_e32 v120, v5, v91
	v_fma_f16 v91, v5, v145, -v4
	v_fmac_f16_e32 v126, v6, v122
	v_fma_f16 v122, v6, v146, -v8
	v_mul_f16_sdwa v4, v7, v93 dst_sel:DWORD dst_unused:UNUSED_PAD src0_sel:WORD_1 src1_sel:DWORD
	v_mul_f16_sdwa v8, v0, v149 dst_sel:DWORD dst_unused:UNUSED_PAD src0_sel:WORD_1 src1_sel:DWORD
	;; [unrolled: 1-line block ×5, first 2 shown]
	v_lshrrev_b32_e32 v151, 16, v123
	v_lshrrev_b32_e32 v152, 16, v127
	v_fmac_f16_e32 v128, v7, v93
	v_fma_f16 v93, v7, v147, -v4
	v_fmac_f16_e32 v8, v0, v121
	v_fma_f16 v4, v0, v149, -v6
	;; [unrolled: 2-line block ×3, first 2 shown]
	v_add_f16_e32 v0, v153, v155
	v_mul_f16_sdwa v6, v2, v123 dst_sel:DWORD dst_unused:UNUSED_PAD src0_sel:WORD_1 src1_sel:DWORD
	v_add_f16_e32 v9, v65, v148
	v_mul_f16_sdwa v10, v2, v151 dst_sel:DWORD dst_unused:UNUSED_PAD src0_sel:WORD_1 src1_sel:DWORD
	v_mul_f16_sdwa v82, v3, v152 dst_sel:DWORD dst_unused:UNUSED_PAD src0_sel:WORD_1 src1_sel:DWORD
	v_fma_f16 v0, -0.5, v0, v65
	v_sub_f16_e32 v121, v16, v19
	v_fma_f16 v7, v2, v151, -v6
	v_add_f16_e32 v6, v9, v153
	v_lshrrev_b32_e32 v79, 16, v65
	v_fmac_f16_e32 v10, v2, v123
	v_fmac_f16_e32 v82, v3, v127
	v_fmamk_f16 v2, v121, 0xbb9c, v0
	v_sub_f16_e32 v123, v17, v18
	v_sub_f16_e32 v9, v148, v153
	;; [unrolled: 1-line block ×3, first 2 shown]
	v_add_f16_e32 v129, v148, v64
	v_mul_f16_sdwa v127, v3, v127 dst_sel:DWORD dst_unused:UNUSED_PAD src0_sel:WORD_1 src1_sel:DWORD
	v_add_f16_e32 v130, v6, v155
	v_fmac_f16_e32 v0, 0x3b9c, v121
	v_fmac_f16_e32 v2, 0xb8b4, v123
	v_add_f16_e32 v131, v9, v11
	v_fma_f16 v6, -0.5, v129, v65
	v_fma_f16 v11, v3, v152, -v127
	v_add_f16_e32 v3, v130, v64
	v_sub_f16_e32 v65, v153, v148
	v_sub_f16_e32 v127, v155, v64
	v_fmac_f16_e32 v0, 0x38b4, v123
	v_add_f16_e32 v129, v79, v16
	v_add_f16_e32 v130, v17, v18
	v_fmac_f16_e32 v2, 0x34f2, v131
	v_fmamk_f16 v9, v123, 0x3b9c, v6
	v_add_f16_e32 v65, v65, v127
	v_fmac_f16_e32 v6, 0xbb9c, v123
	v_add_f16_e32 v123, v129, v17
	v_fma_f16 v127, -0.5, v130, v79
	v_sub_f16_e32 v64, v148, v64
	v_fmac_f16_e32 v0, 0x34f2, v131
	v_add_f16_e32 v129, v16, v19
	v_sub_f16_e32 v131, v16, v17
	v_sub_f16_e32 v16, v17, v16
	;; [unrolled: 1-line block ×3, first 2 shown]
	v_fmac_f16_e32 v9, 0xb8b4, v121
	v_fmac_f16_e32 v6, 0x38b4, v121
	v_add_f16_e32 v121, v123, v18
	v_fmamk_f16 v123, v64, 0x3b9c, v127
	v_sub_f16_e32 v130, v153, v155
	v_sub_f16_e32 v140, v19, v18
	v_fmac_f16_e32 v79, -0.5, v129
	v_fmac_f16_e32 v127, 0xbb9c, v64
	v_add_f16_e32 v18, v124, v81
	v_add_f16_e32 v16, v16, v17
	;; [unrolled: 1-line block ×3, first 2 shown]
	v_lshrrev_b32_e32 v77, 16, v66
	v_fmac_f16_e32 v9, 0x34f2, v65
	v_fmac_f16_e32 v6, 0x34f2, v65
	v_add_f16_e32 v65, v121, v19
	v_fmac_f16_e32 v123, 0x38b4, v130
	v_add_f16_e32 v121, v131, v140
	v_fmamk_f16 v129, v130, 0xbb9c, v79
	v_fmac_f16_e32 v127, 0xb8b4, v130
	v_fma_f16 v18, -0.5, v18, v66
	v_sub_f16_e32 v19, v12, v15
	v_fmac_f16_e32 v79, 0x3b9c, v130
	v_add_f16_e32 v17, v17, v124
	v_sub_f16_e32 v131, v83, v124
	v_sub_f16_e32 v140, v86, v81
	v_add_f16_e32 v141, v83, v86
	v_fmac_f16_e32 v123, 0x34f2, v121
	v_fmac_f16_e32 v129, 0x38b4, v64
	;; [unrolled: 1-line block ×3, first 2 shown]
	v_fmamk_f16 v121, v19, 0xbb9c, v18
	v_sub_f16_e32 v130, v13, v14
	v_fmac_f16_e32 v79, 0xb8b4, v64
	v_add_f16_e32 v17, v17, v81
	v_add_f16_e32 v64, v131, v140
	v_fmac_f16_e32 v66, -0.5, v141
	v_fmac_f16_e32 v18, 0x3b9c, v19
	v_sub_f16_e32 v131, v124, v83
	v_sub_f16_e32 v140, v81, v86
	v_add_f16_e32 v141, v77, v12
	v_add_f16_e32 v142, v13, v14
	v_fmac_f16_e32 v129, 0x34f2, v16
	v_fmac_f16_e32 v121, 0xb8b4, v130
	;; [unrolled: 1-line block ×3, first 2 shown]
	v_add_f16_e32 v16, v17, v86
	v_fmamk_f16 v17, v130, 0x3b9c, v66
	v_fmac_f16_e32 v18, 0x38b4, v130
	v_add_f16_e32 v131, v131, v140
	v_fmac_f16_e32 v66, 0xbb9c, v130
	v_add_f16_e32 v130, v141, v13
	v_fma_f16 v140, -0.5, v142, v77
	v_sub_f16_e32 v83, v83, v86
	v_add_f16_e32 v86, v12, v15
	v_sub_f16_e32 v81, v124, v81
	v_sub_f16_e32 v124, v12, v13
	;; [unrolled: 1-line block ×4, first 2 shown]
	v_fmac_f16_e32 v121, 0x34f2, v64
	v_fmac_f16_e32 v17, 0xb8b4, v19
	;; [unrolled: 1-line block ×4, first 2 shown]
	v_add_f16_e32 v19, v130, v14
	v_fmamk_f16 v64, v83, 0x3b9c, v140
	v_sub_f16_e32 v130, v15, v14
	v_fmac_f16_e32 v77, -0.5, v86
	v_fmac_f16_e32 v140, 0xbb9c, v83
	v_add_f16_e32 v14, v85, v94
	v_add_f16_e32 v12, v12, v13
	v_add_f16_e32 v13, v67, v80
	v_lshrrev_b32_e32 v78, 16, v67
	v_add_f16_e32 v19, v19, v15
	v_fmac_f16_e32 v64, 0x38b4, v81
	v_add_f16_e32 v86, v124, v130
	v_fmamk_f16 v124, v81, 0xbb9c, v77
	v_fmac_f16_e32 v140, 0xb8b4, v81
	v_fma_f16 v14, -0.5, v14, v67
	v_sub_f16_e32 v15, v84, v92
	v_fmac_f16_e32 v77, 0x3b9c, v81
	v_add_f16_e32 v13, v13, v85
	v_add_f16_e32 v141, v80, v88
	v_fmac_f16_e32 v17, 0x34f2, v131
	v_fmac_f16_e32 v66, 0x34f2, v131
	;; [unrolled: 1-line block ×5, first 2 shown]
	v_fmamk_f16 v81, v15, 0xbb9c, v14
	v_sub_f16_e32 v86, v87, v125
	v_sub_f16_e32 v130, v80, v85
	;; [unrolled: 1-line block ×3, first 2 shown]
	v_fmac_f16_e32 v77, 0xb8b4, v83
	v_add_f16_e32 v13, v13, v94
	v_fma_f16 v67, -0.5, v141, v67
	v_fmac_f16_e32 v14, 0x3b9c, v15
	v_add_f16_e32 v141, v78, v84
	v_fmac_f16_e32 v124, 0x34f2, v12
	v_fmac_f16_e32 v81, 0xb8b4, v86
	v_add_f16_e32 v83, v130, v131
	v_fmac_f16_e32 v77, 0x34f2, v12
	v_add_f16_e32 v12, v13, v88
	v_fmamk_f16 v13, v86, 0x3b9c, v67
	v_sub_f16_e32 v130, v85, v80
	v_sub_f16_e32 v131, v94, v88
	v_fmac_f16_e32 v14, 0x38b4, v86
	v_add_f16_e32 v142, v87, v125
	v_fmac_f16_e32 v67, 0xbb9c, v86
	v_add_f16_e32 v86, v141, v87
	;; [unrolled: 2-line block ×3, first 2 shown]
	v_fma_f16 v131, -0.5, v142, v78
	v_sub_f16_e32 v80, v80, v88
	v_fmac_f16_e32 v67, 0x38b4, v15
	v_add_f16_e32 v15, v86, v125
	v_add_f16_e32 v86, v84, v92
	v_fmac_f16_e32 v81, 0x34f2, v83
	v_fmac_f16_e32 v14, 0x34f2, v83
	v_fmamk_f16 v83, v80, 0x3b9c, v131
	v_sub_f16_e32 v85, v85, v94
	v_sub_f16_e32 v88, v84, v87
	v_sub_f16_e32 v94, v92, v125
	v_fmac_f16_e32 v78, -0.5, v86
	v_add_f16_e32 v15, v15, v92
	v_fmac_f16_e32 v131, 0xbb9c, v80
	v_sub_f16_e32 v84, v87, v84
	v_sub_f16_e32 v87, v125, v92
	v_add_f16_e32 v92, v120, v126
	v_lshrrev_b32_e32 v76, 16, v68
	v_fmac_f16_e32 v83, 0x38b4, v85
	v_add_f16_e32 v86, v88, v94
	v_fmamk_f16 v88, v85, 0xbb9c, v78
	v_fmac_f16_e32 v131, 0xb8b4, v85
	v_add_f16_e32 v84, v84, v87
	v_add_f16_e32 v87, v68, v89
	v_fma_f16 v92, -0.5, v92, v68
	v_sub_f16_e32 v94, v90, v93
	v_fmac_f16_e32 v78, 0x3b9c, v85
	v_add_f16_e32 v141, v89, v128
	v_fmac_f16_e32 v13, 0x34f2, v130
	v_fmac_f16_e32 v67, 0x34f2, v130
	;; [unrolled: 1-line block ×5, first 2 shown]
	v_add_f16_e32 v85, v87, v120
	v_fmamk_f16 v86, v94, 0xbb9c, v92
	v_sub_f16_e32 v87, v91, v122
	v_sub_f16_e32 v125, v89, v120
	;; [unrolled: 1-line block ×3, first 2 shown]
	v_fmac_f16_e32 v78, 0xb8b4, v80
	v_fmac_f16_e32 v68, -0.5, v141
	v_fmac_f16_e32 v92, 0x3b9c, v94
	v_add_f16_e32 v141, v76, v90
	v_fmac_f16_e32 v88, 0x34f2, v84
	v_add_f16_e32 v80, v85, v126
	;; [unrolled: 2-line block ×3, first 2 shown]
	v_fmac_f16_e32 v78, 0x34f2, v84
	v_fmamk_f16 v84, v87, 0x3b9c, v68
	v_sub_f16_e32 v125, v120, v89
	v_sub_f16_e32 v130, v126, v128
	v_fmac_f16_e32 v92, 0x38b4, v87
	v_add_f16_e32 v142, v91, v122
	v_fmac_f16_e32 v68, 0xbb9c, v87
	v_add_f16_e32 v87, v141, v91
	v_fmac_f16_e32 v86, 0x34f2, v85
	v_fmac_f16_e32 v84, 0xb8b4, v94
	v_add_f16_e32 v125, v125, v130
	v_fma_f16 v130, -0.5, v142, v76
	v_sub_f16_e32 v89, v89, v128
	v_fmac_f16_e32 v92, 0x34f2, v85
	v_fmac_f16_e32 v68, 0x38b4, v94
	v_add_f16_e32 v85, v87, v122
	v_add_f16_e32 v94, v90, v93
	;; [unrolled: 1-line block ×3, first 2 shown]
	v_fmamk_f16 v87, v89, 0x3b9c, v130
	v_sub_f16_e32 v120, v120, v126
	v_sub_f16_e32 v126, v90, v91
	;; [unrolled: 1-line block ×3, first 2 shown]
	v_fmac_f16_e32 v76, -0.5, v94
	v_add_f16_e32 v85, v85, v93
	v_fmac_f16_e32 v130, 0xbb9c, v89
	v_sub_f16_e32 v90, v91, v90
	v_sub_f16_e32 v91, v122, v93
	v_add_f16_e32 v93, v5, v10
	v_fmac_f16_e32 v84, 0x34f2, v125
	v_fmac_f16_e32 v68, 0x34f2, v125
	;; [unrolled: 1-line block ×3, first 2 shown]
	v_add_f16_e32 v94, v126, v128
	v_fmamk_f16 v125, v120, 0xbb9c, v76
	v_fmac_f16_e32 v130, 0xb8b4, v120
	v_add_f16_e32 v90, v90, v91
	v_fmac_f16_e32 v76, 0x3b9c, v120
	v_add_f16_e32 v91, v63, v8
	v_fma_f16 v93, -0.5, v93, v63
	v_sub_f16_e32 v120, v4, v11
	v_fmac_f16_e32 v87, 0x34f2, v94
	v_fmac_f16_e32 v125, 0x38b4, v89
	;; [unrolled: 1-line block ×4, first 2 shown]
	v_add_f16_e32 v89, v91, v5
	v_fmamk_f16 v91, v120, 0xbb9c, v93
	v_sub_f16_e32 v94, v1, v7
	v_sub_f16_e32 v122, v8, v5
	;; [unrolled: 1-line block ×3, first 2 shown]
	v_fmac_f16_e32 v93, 0x3b9c, v120
	v_add_f16_e32 v128, v8, v82
	v_lshrrev_b32_e32 v75, 16, v63
	v_add_f16_e32 v89, v89, v10
	v_fmac_f16_e32 v91, 0xb8b4, v94
	v_add_f16_e32 v122, v122, v126
	v_fmac_f16_e32 v93, 0x38b4, v94
	v_fmac_f16_e32 v63, -0.5, v128
	v_sub_f16_e32 v126, v5, v8
	v_sub_f16_e32 v128, v10, v82
	v_fmac_f16_e32 v125, 0x34f2, v90
	v_fmac_f16_e32 v76, 0x34f2, v90
	v_add_f16_e32 v89, v89, v82
	v_fmac_f16_e32 v91, 0x34f2, v122
	v_fmac_f16_e32 v93, 0x34f2, v122
	v_fmamk_f16 v90, v94, 0x3b9c, v63
	v_add_f16_e32 v122, v1, v7
	v_fmac_f16_e32 v63, 0xbb9c, v94
	v_sub_f16_e32 v8, v8, v82
	v_add_f16_e32 v82, v126, v128
	v_add_f16_e32 v126, v4, v11
	;; [unrolled: 1-line block ×3, first 2 shown]
	v_fma_f16 v122, -0.5, v122, v75
	v_fmac_f16_e32 v90, 0xb8b4, v120
	v_fmac_f16_e32 v63, 0x38b4, v120
	v_sub_f16_e32 v5, v5, v10
	v_fmac_f16_e32 v75, -0.5, v126
	v_add_f16_e32 v94, v94, v1
	v_fmac_f16_e32 v90, 0x34f2, v82
	v_fmac_f16_e32 v63, 0x34f2, v82
	v_sub_f16_e32 v82, v4, v1
	v_fmamk_f16 v126, v5, 0xbb9c, v75
	v_sub_f16_e32 v1, v1, v4
	v_sub_f16_e32 v4, v7, v11
	v_fmac_f16_e32 v75, 0x3b9c, v5
	v_fmamk_f16 v120, v8, 0x3b9c, v122
	v_add_f16_e32 v10, v94, v7
	v_sub_f16_e32 v94, v11, v7
	v_fmac_f16_e32 v122, 0xbb9c, v8
	v_fmac_f16_e32 v126, 0x38b4, v8
	v_add_f16_e32 v1, v1, v4
	v_fmac_f16_e32 v75, 0xb8b4, v8
	v_fmac_f16_e32 v120, 0x38b4, v5
	v_add_f16_e32 v7, v82, v94
	v_fmac_f16_e32 v122, 0xb8b4, v5
	v_fmac_f16_e32 v126, 0x34f2, v1
	;; [unrolled: 1-line block ×3, first 2 shown]
	v_pack_b32_f16 v1, v3, v65
	v_pack_b32_f16 v2, v2, v123
	;; [unrolled: 1-line block ×5, first 2 shown]
	v_fmac_f16_e32 v120, 0x34f2, v7
	v_fmac_f16_e32 v122, 0x34f2, v7
	v_pack_b32_f16 v6, v16, v19
	v_pack_b32_f16 v7, v121, v64
	;; [unrolled: 1-line block ×4, first 2 shown]
	ds_write2_b32 v132, v1, v2 offset1:11
	ds_write2_b32 v132, v3, v5 offset0:22 offset1:33
	ds_write_b32 v132, v0 offset:176
	ds_write2_b32 v133, v6, v7 offset1:11
	ds_write2_b32 v133, v8, v9 offset0:22 offset1:33
	v_pack_b32_f16 v0, v18, v140
	v_pack_b32_f16 v1, v12, v15
	;; [unrolled: 1-line block ×3, first 2 shown]
	v_add_f16_e32 v4, v10, v11
	v_pack_b32_f16 v3, v13, v88
	v_pack_b32_f16 v5, v67, v78
	;; [unrolled: 1-line block ×5, first 2 shown]
	ds_write_b32 v133, v0 offset:176
	ds_write2_b32 v135, v1, v2 offset1:11
	ds_write2_b32 v135, v3, v5 offset0:22 offset1:33
	ds_write_b32 v135, v6 offset:176
	ds_write2_b32 v134, v7, v8 offset1:11
	v_pack_b32_f16 v0, v84, v125
	v_pack_b32_f16 v1, v68, v76
	;; [unrolled: 1-line block ×8, first 2 shown]
	ds_write2_b32 v134, v0, v1 offset0:22 offset1:33
	ds_write_b32 v134, v2 offset:176
	ds_write2_b32 v139, v3, v4 offset1:11
	ds_write2_b32 v139, v5, v6 offset0:22 offset1:33
	ds_write_b32 v139, v7 offset:176
	s_waitcnt lgkmcnt(0)
	s_barrier
	buffer_gl0_inv
	ds_read2_b32 v[2:3], v95 offset1:55
	ds_read2_b32 v[0:1], v74 offset0:92 offset1:147
	ds_read2_b32 v[11:12], v71 offset0:38 offset1:93
	;; [unrolled: 1-line block ×11, first 2 shown]
	ds_read_b32 v82, v95 offset:5280
	s_waitcnt lgkmcnt(0)
	s_barrier
	buffer_gl0_inv
	v_lshrrev_b32_e32 v10, 16, v2
	v_lshrrev_b32_e32 v19, 16, v1
	;; [unrolled: 1-line block ×4, first 2 shown]
	v_mul_f16_sdwa v128, v38, v14 dst_sel:DWORD dst_unused:UNUSED_PAD src0_sel:WORD_1 src1_sel:DWORD
	v_lshrrev_b32_e32 v83, 16, v17
	v_mul_f16_sdwa v120, v36, v19 dst_sel:DWORD dst_unused:UNUSED_PAD src0_sel:WORD_1 src1_sel:DWORD
	v_mul_f16_sdwa v125, v37, v79 dst_sel:DWORD dst_unused:UNUSED_PAD src0_sel:WORD_1 src1_sel:DWORD
	v_lshrrev_b32_e32 v81, 16, v15
	v_lshrrev_b32_e32 v84, 16, v12
	;; [unrolled: 1-line block ×3, first 2 shown]
	v_fmac_f16_e32 v120, v36, v1
	v_mul_f16_sdwa v1, v36, v1 dst_sel:DWORD dst_unused:UNUSED_PAD src0_sel:WORD_1 src1_sel:DWORD
	v_mul_f16_sdwa v126, v37, v11 dst_sel:DWORD dst_unused:UNUSED_PAD src0_sel:WORD_1 src1_sel:DWORD
	;; [unrolled: 1-line block ×3, first 2 shown]
	v_fmac_f16_e32 v125, v37, v11
	v_fma_f16 v80, v38, v80, -v128
	v_fma_f16 v129, v36, v19, -v1
	v_mul_f16_sdwa v1, v39, v15 dst_sel:DWORD dst_unused:UNUSED_PAD src0_sel:WORD_1 src1_sel:DWORD
	v_mul_f16_sdwa v128, v36, v83 dst_sel:DWORD dst_unused:UNUSED_PAD src0_sel:WORD_1 src1_sel:DWORD
	;; [unrolled: 1-line block ×3, first 2 shown]
	v_lshrrev_b32_e32 v87, 16, v18
	v_lshrrev_b32_e32 v89, 16, v64
	v_fma_f16 v79, v37, v79, -v126
	v_mul_f16_sdwa v126, v39, v81 dst_sel:DWORD dst_unused:UNUSED_PAD src0_sel:WORD_1 src1_sel:DWORD
	v_mul_f16_sdwa v130, v37, v84 dst_sel:DWORD dst_unused:UNUSED_PAD src0_sel:WORD_1 src1_sel:DWORD
	v_fma_f16 v81, v39, v81, -v1
	v_fmac_f16_e32 v128, v36, v17
	v_fma_f16 v36, v36, v83, -v11
	v_mul_f16_sdwa v1, v37, v12 dst_sel:DWORD dst_unused:UNUSED_PAD src0_sel:WORD_1 src1_sel:DWORD
	v_mul_f16_sdwa v83, v38, v85 dst_sel:DWORD dst_unused:UNUSED_PAD src0_sel:WORD_1 src1_sel:DWORD
	;; [unrolled: 1-line block ×3, first 2 shown]
	v_lshrrev_b32_e32 v88, 16, v65
	v_lshrrev_b32_e32 v90, 16, v67
	v_fmac_f16_e32 v127, v38, v14
	v_fmac_f16_e32 v130, v37, v12
	v_fma_f16 v37, v37, v84, -v1
	v_fmac_f16_e32 v83, v38, v63
	v_fma_f16 v38, v38, v85, -v11
	v_mul_f16_sdwa v63, v32, v87 dst_sel:DWORD dst_unused:UNUSED_PAD src0_sel:WORD_1 src1_sel:DWORD
	v_mul_f16_sdwa v1, v32, v18 dst_sel:DWORD dst_unused:UNUSED_PAD src0_sel:WORD_1 src1_sel:DWORD
	;; [unrolled: 1-line block ×3, first 2 shown]
	v_lshrrev_b32_e32 v86, 16, v16
	v_lshrrev_b32_e32 v92, 16, v66
	v_mul_f16_sdwa v84, v33, v88 dst_sel:DWORD dst_unused:UNUSED_PAD src0_sel:WORD_1 src1_sel:DWORD
	v_mul_f16_sdwa v11, v33, v65 dst_sel:DWORD dst_unused:UNUSED_PAD src0_sel:WORD_1 src1_sel:DWORD
	v_fmac_f16_e32 v63, v32, v18
	v_fma_f16 v32, v32, v87, -v1
	v_fmac_f16_e32 v85, v34, v64
	v_mul_f16_sdwa v1, v34, v64 dst_sel:DWORD dst_unused:UNUSED_PAD src0_sel:WORD_1 src1_sel:DWORD
	v_mul_f16_sdwa v64, v35, v90 dst_sel:DWORD dst_unused:UNUSED_PAD src0_sel:WORD_1 src1_sel:DWORD
	v_lshrrev_b32_e32 v91, 16, v75
	v_lshrrev_b32_e32 v94, 16, v68
	v_mul_f16_sdwa v131, v39, v86 dst_sel:DWORD dst_unused:UNUSED_PAD src0_sel:WORD_1 src1_sel:DWORD
	v_mul_f16_sdwa v12, v39, v16 dst_sel:DWORD dst_unused:UNUSED_PAD src0_sel:WORD_1 src1_sel:DWORD
	v_fmac_f16_e32 v84, v33, v65
	v_fma_f16 v33, v33, v88, -v11
	v_mul_f16_sdwa v11, v35, v67 dst_sel:DWORD dst_unused:UNUSED_PAD src0_sel:WORD_1 src1_sel:DWORD
	v_fma_f16 v34, v34, v89, -v1
	v_fmac_f16_e32 v64, v35, v67
	v_mul_f16_sdwa v67, v25, v92 dst_sel:DWORD dst_unused:UNUSED_PAD src0_sel:WORD_1 src1_sel:DWORD
	v_mul_f16_sdwa v1, v25, v66 dst_sel:DWORD dst_unused:UNUSED_PAD src0_sel:WORD_1 src1_sel:DWORD
	v_lshrrev_b32_e32 v93, 16, v77
	v_lshrrev_b32_e32 v122, 16, v13
	v_fmac_f16_e32 v126, v39, v15
	v_fmac_f16_e32 v131, v39, v16
	v_fma_f16 v39, v39, v86, -v12
	v_mul_f16_sdwa v65, v24, v91 dst_sel:DWORD dst_unused:UNUSED_PAD src0_sel:WORD_1 src1_sel:DWORD
	v_mul_f16_sdwa v86, v27, v94 dst_sel:DWORD dst_unused:UNUSED_PAD src0_sel:WORD_1 src1_sel:DWORD
	v_fmac_f16_e32 v67, v25, v66
	v_fma_f16 v25, v25, v92, -v1
	v_mul_f16_sdwa v1, v27, v68 dst_sel:DWORD dst_unused:UNUSED_PAD src0_sel:WORD_1 src1_sel:DWORD
	v_lshrrev_b32_e32 v121, 16, v76
	v_lshrrev_b32_e32 v123, 16, v78
	v_mul_f16_sdwa v12, v24, v75 dst_sel:DWORD dst_unused:UNUSED_PAD src0_sel:WORD_1 src1_sel:DWORD
	v_fma_f16 v35, v35, v90, -v11
	v_fmac_f16_e32 v65, v24, v75
	v_mul_f16_sdwa v75, v26, v93 dst_sel:DWORD dst_unused:UNUSED_PAD src0_sel:WORD_1 src1_sel:DWORD
	v_mul_f16_sdwa v11, v26, v77 dst_sel:DWORD dst_unused:UNUSED_PAD src0_sel:WORD_1 src1_sel:DWORD
	v_fmac_f16_e32 v86, v27, v68
	v_mul_f16_sdwa v14, v21, v122 dst_sel:DWORD dst_unused:UNUSED_PAD src0_sel:WORD_1 src1_sel:DWORD
	v_fma_f16 v27, v27, v94, -v1
	v_add_f16_e32 v1, v125, v127
	v_lshrrev_b32_e32 v124, 16, v82
	v_fma_f16 v24, v24, v91, -v12
	v_fmac_f16_e32 v75, v26, v77
	v_fma_f16 v26, v26, v93, -v11
	v_mul_f16_sdwa v15, v20, v121 dst_sel:DWORD dst_unused:UNUSED_PAD src0_sel:WORD_1 src1_sel:DWORD
	v_mul_f16_sdwa v11, v20, v76 dst_sel:DWORD dst_unused:UNUSED_PAD src0_sel:WORD_1 src1_sel:DWORD
	v_mul_f16_sdwa v12, v21, v13 dst_sel:DWORD dst_unused:UNUSED_PAD src0_sel:WORD_1 src1_sel:DWORD
	v_fmac_f16_e32 v14, v21, v13
	v_mul_f16_sdwa v19, v22, v123 dst_sel:DWORD dst_unused:UNUSED_PAD src0_sel:WORD_1 src1_sel:DWORD
	v_mul_f16_sdwa v13, v22, v78 dst_sel:DWORD dst_unused:UNUSED_PAD src0_sel:WORD_1 src1_sel:DWORD
	v_fma_f16 v1, -0.5, v1, v2
	v_sub_f16_e32 v66, v129, v81
	v_fmac_f16_e32 v15, v20, v76
	v_fma_f16 v11, v20, v121, -v11
	v_fma_f16 v12, v21, v122, -v12
	v_mul_f16_sdwa v21, v23, v124 dst_sel:DWORD dst_unused:UNUSED_PAD src0_sel:WORD_1 src1_sel:DWORD
	v_fmac_f16_e32 v19, v22, v78
	v_fma_f16 v16, v22, v123, -v13
	v_fmamk_f16 v13, v66, 0xbb9c, v1
	v_sub_f16_e32 v22, v79, v80
	v_sub_f16_e32 v18, v120, v125
	;; [unrolled: 1-line block ×3, first 2 shown]
	v_add_f16_e32 v68, v120, v126
	v_mul_f16_sdwa v76, v23, v82 dst_sel:DWORD dst_unused:UNUSED_PAD src0_sel:WORD_1 src1_sel:DWORD
	v_fmac_f16_e32 v1, 0x3b9c, v66
	v_add_f16_e32 v17, v2, v120
	v_fmac_f16_e32 v21, v23, v82
	v_fmac_f16_e32 v13, 0xb8b4, v22
	v_add_f16_e32 v77, v18, v20
	v_fma_f16 v2, -0.5, v68, v2
	v_fma_f16 v20, v23, v124, -v76
	v_sub_f16_e32 v23, v125, v120
	v_sub_f16_e32 v68, v127, v126
	v_fmac_f16_e32 v1, 0x38b4, v22
	v_add_f16_e32 v76, v10, v129
	v_add_f16_e32 v78, v79, v80
	v_fmac_f16_e32 v13, 0x34f2, v77
	v_fmamk_f16 v18, v22, 0x3b9c, v2
	v_add_f16_e32 v23, v23, v68
	v_fmac_f16_e32 v2, 0xbb9c, v22
	v_add_f16_e32 v22, v76, v79
	v_fma_f16 v68, -0.5, v78, v10
	v_sub_f16_e32 v76, v120, v126
	v_fmac_f16_e32 v1, 0x34f2, v77
	v_add_f16_e32 v77, v129, v81
	v_fmac_f16_e32 v18, 0xb8b4, v66
	v_fmac_f16_e32 v2, 0x38b4, v66
	v_add_f16_e32 v22, v22, v80
	v_fmamk_f16 v66, v76, 0x3b9c, v68
	v_sub_f16_e32 v78, v125, v127
	v_sub_f16_e32 v82, v129, v79
	;; [unrolled: 1-line block ×3, first 2 shown]
	v_fmac_f16_e32 v10, -0.5, v77
	v_fmac_f16_e32 v68, 0xbb9c, v76
	v_sub_f16_e32 v79, v79, v129
	v_sub_f16_e32 v80, v80, v81
	v_fmac_f16_e32 v18, 0x34f2, v23
	v_fmac_f16_e32 v2, 0x34f2, v23
	v_add_f16_e32 v22, v22, v81
	v_fmac_f16_e32 v66, 0x38b4, v78
	v_add_f16_e32 v23, v82, v87
	v_fmamk_f16 v77, v78, 0xbb9c, v10
	v_add_f16_e32 v81, v130, v83
	v_fmac_f16_e32 v68, 0xb8b4, v78
	v_add_f16_e32 v79, v79, v80
	v_add_f16_e32 v80, v3, v128
	v_fmac_f16_e32 v10, 0x3b9c, v78
	v_add_f16_e32 v89, v128, v131
	v_lshrrev_b32_e32 v8, 16, v3
	v_fmac_f16_e32 v66, 0x34f2, v23
	v_fmac_f16_e32 v77, 0x38b4, v76
	v_fma_f16 v81, -0.5, v81, v3
	v_sub_f16_e32 v82, v36, v39
	v_fmac_f16_e32 v68, 0x34f2, v23
	v_add_f16_e32 v23, v80, v130
	v_sub_f16_e32 v80, v37, v38
	v_sub_f16_e32 v87, v128, v130
	;; [unrolled: 1-line block ×3, first 2 shown]
	v_fmac_f16_e32 v10, 0xb8b4, v76
	v_fmac_f16_e32 v3, -0.5, v89
	v_fmac_f16_e32 v77, 0x34f2, v79
	v_fmamk_f16 v78, v82, 0xbb9c, v81
	v_add_f16_e32 v76, v87, v88
	v_fmac_f16_e32 v10, 0x34f2, v79
	v_fmac_f16_e32 v81, 0x3b9c, v82
	v_fmamk_f16 v79, v80, 0x3b9c, v3
	v_sub_f16_e32 v87, v130, v128
	v_sub_f16_e32 v88, v83, v131
	v_add_f16_e32 v89, v8, v36
	v_add_f16_e32 v90, v37, v38
	v_fmac_f16_e32 v3, 0xbb9c, v80
	v_fmac_f16_e32 v78, 0xb8b4, v80
	;; [unrolled: 1-line block ×4, first 2 shown]
	v_add_f16_e32 v87, v87, v88
	v_add_f16_e32 v80, v89, v37
	v_fma_f16 v88, -0.5, v90, v8
	v_sub_f16_e32 v89, v128, v131
	v_fmac_f16_e32 v3, 0x38b4, v82
	v_add_f16_e32 v82, v36, v39
	v_sub_f16_e32 v90, v36, v37
	v_sub_f16_e32 v36, v37, v36
	;; [unrolled: 1-line block ×3, first 2 shown]
	v_add_f16_e32 v23, v23, v83
	v_fmac_f16_e32 v78, 0x34f2, v76
	v_fmac_f16_e32 v81, 0x34f2, v76
	v_add_f16_e32 v76, v80, v38
	v_fmamk_f16 v80, v89, 0x3b9c, v88
	v_sub_f16_e32 v83, v130, v83
	v_sub_f16_e32 v91, v39, v38
	v_fmac_f16_e32 v8, -0.5, v82
	v_fmac_f16_e32 v88, 0xbb9c, v89
	v_add_f16_e32 v38, v84, v85
	v_add_f16_e32 v36, v36, v37
	;; [unrolled: 1-line block ×3, first 2 shown]
	v_lshrrev_b32_e32 v9, 16, v4
	v_fmac_f16_e32 v79, 0x34f2, v87
	v_fmac_f16_e32 v3, 0x34f2, v87
	v_add_f16_e32 v76, v76, v39
	v_fmac_f16_e32 v80, 0x38b4, v83
	v_add_f16_e32 v82, v90, v91
	v_fmamk_f16 v87, v83, 0xbb9c, v8
	v_fmac_f16_e32 v88, 0xb8b4, v83
	v_fma_f16 v38, -0.5, v38, v4
	v_sub_f16_e32 v39, v32, v35
	v_fmac_f16_e32 v8, 0x3b9c, v83
	v_add_f16_e32 v37, v37, v84
	v_add_f16_e32 v92, v63, v64
	v_fmac_f16_e32 v80, 0x34f2, v82
	v_fmac_f16_e32 v87, 0x38b4, v89
	v_fmac_f16_e32 v88, 0x34f2, v82
	v_fmamk_f16 v82, v39, 0xbb9c, v38
	v_sub_f16_e32 v83, v33, v34
	v_sub_f16_e32 v90, v63, v84
	;; [unrolled: 1-line block ×3, first 2 shown]
	v_fmac_f16_e32 v8, 0xb8b4, v89
	v_add_f16_e32 v37, v37, v85
	v_fma_f16 v4, -0.5, v92, v4
	v_fmac_f16_e32 v38, 0x3b9c, v39
	v_add_f16_e32 v92, v9, v32
	v_fmac_f16_e32 v87, 0x34f2, v36
	v_fmac_f16_e32 v82, 0xb8b4, v83
	v_add_f16_e32 v89, v90, v91
	v_fmac_f16_e32 v8, 0x34f2, v36
	v_add_f16_e32 v36, v37, v64
	v_fmamk_f16 v37, v83, 0x3b9c, v4
	v_sub_f16_e32 v90, v84, v63
	v_sub_f16_e32 v91, v85, v64
	v_fmac_f16_e32 v38, 0x38b4, v83
	v_add_f16_e32 v93, v33, v34
	v_fmac_f16_e32 v4, 0xbb9c, v83
	v_add_f16_e32 v83, v92, v33
	;; [unrolled: 2-line block ×3, first 2 shown]
	v_fma_f16 v91, -0.5, v93, v9
	v_sub_f16_e32 v63, v63, v64
	v_fmac_f16_e32 v4, 0x38b4, v39
	v_add_f16_e32 v39, v83, v34
	v_add_f16_e32 v83, v32, v35
	v_sub_f16_e32 v84, v84, v85
	v_sub_f16_e32 v85, v32, v33
	;; [unrolled: 1-line block ×4, first 2 shown]
	v_fmac_f16_e32 v82, 0x34f2, v89
	v_fmac_f16_e32 v38, 0x34f2, v89
	v_fmamk_f16 v64, v63, 0x3b9c, v91
	v_sub_f16_e32 v89, v35, v34
	v_fmac_f16_e32 v9, -0.5, v83
	v_fmac_f16_e32 v91, 0xbb9c, v63
	v_add_f16_e32 v34, v67, v75
	v_add_f16_e32 v32, v32, v33
	;; [unrolled: 1-line block ×3, first 2 shown]
	v_lshrrev_b32_e32 v7, 16, v5
	v_add_f16_e32 v39, v39, v35
	v_fmac_f16_e32 v64, 0x38b4, v84
	v_add_f16_e32 v83, v85, v89
	v_fmamk_f16 v85, v84, 0xbb9c, v9
	v_fmac_f16_e32 v91, 0xb8b4, v84
	v_fma_f16 v34, -0.5, v34, v5
	v_sub_f16_e32 v35, v24, v27
	v_fmac_f16_e32 v9, 0x3b9c, v84
	v_add_f16_e32 v33, v33, v67
	v_add_f16_e32 v92, v65, v86
	v_fmac_f16_e32 v37, 0x34f2, v90
	v_fmac_f16_e32 v4, 0x34f2, v90
	;; [unrolled: 1-line block ×5, first 2 shown]
	v_fmamk_f16 v83, v35, 0xbb9c, v34
	v_sub_f16_e32 v84, v25, v26
	v_sub_f16_e32 v89, v65, v67
	;; [unrolled: 1-line block ×3, first 2 shown]
	v_fmac_f16_e32 v9, 0xb8b4, v63
	v_add_f16_e32 v33, v33, v75
	v_fmac_f16_e32 v5, -0.5, v92
	v_fmac_f16_e32 v34, 0x3b9c, v35
	v_add_f16_e32 v92, v7, v24
	v_fmac_f16_e32 v85, 0x34f2, v32
	v_fmac_f16_e32 v83, 0xb8b4, v84
	v_add_f16_e32 v63, v89, v90
	v_fmac_f16_e32 v9, 0x34f2, v32
	v_add_f16_e32 v32, v33, v86
	v_fmamk_f16 v33, v84, 0x3b9c, v5
	v_sub_f16_e32 v89, v67, v65
	v_sub_f16_e32 v90, v75, v86
	v_fmac_f16_e32 v34, 0x38b4, v84
	v_add_f16_e32 v93, v25, v26
	v_fmac_f16_e32 v5, 0xbb9c, v84
	v_add_f16_e32 v84, v92, v25
	;; [unrolled: 2-line block ×3, first 2 shown]
	v_fma_f16 v90, -0.5, v93, v7
	v_sub_f16_e32 v65, v65, v86
	v_fmac_f16_e32 v5, 0x38b4, v35
	v_add_f16_e32 v35, v84, v26
	v_add_f16_e32 v84, v24, v27
	v_fmac_f16_e32 v83, 0x34f2, v63
	v_fmac_f16_e32 v34, 0x34f2, v63
	v_fmamk_f16 v63, v65, 0x3b9c, v90
	v_sub_f16_e32 v67, v67, v75
	v_sub_f16_e32 v75, v24, v25
	;; [unrolled: 1-line block ×3, first 2 shown]
	v_fmac_f16_e32 v7, -0.5, v84
	v_fmac_f16_e32 v90, 0xbb9c, v65
	v_sub_f16_e32 v24, v25, v24
	v_sub_f16_e32 v25, v26, v27
	v_add_f16_e32 v26, v14, v19
	v_add_f16_e32 v35, v35, v27
	v_fmac_f16_e32 v63, 0x38b4, v67
	v_add_f16_e32 v75, v75, v86
	v_fmamk_f16 v84, v67, 0xbb9c, v7
	v_fmac_f16_e32 v90, 0xb8b4, v67
	v_add_f16_e32 v24, v24, v25
	v_fmac_f16_e32 v7, 0x3b9c, v67
	v_add_f16_e32 v25, v0, v15
	v_fma_f16 v26, -0.5, v26, v0
	v_sub_f16_e32 v27, v11, v20
	v_fmac_f16_e32 v33, 0x34f2, v89
	v_fmac_f16_e32 v5, 0x34f2, v89
	;; [unrolled: 1-line block ×6, first 2 shown]
	v_add_f16_e32 v25, v25, v14
	v_fmamk_f16 v65, v27, 0xbb9c, v26
	v_sub_f16_e32 v67, v12, v16
	v_sub_f16_e32 v75, v15, v14
	v_sub_f16_e32 v86, v21, v19
	v_fmac_f16_e32 v26, 0x3b9c, v27
	v_add_f16_e32 v89, v15, v21
	v_lshrrev_b32_e32 v6, 16, v0
	v_add_f16_e32 v25, v25, v19
	v_fmac_f16_e32 v65, 0xb8b4, v67
	v_add_f16_e32 v75, v75, v86
	v_fmac_f16_e32 v26, 0x38b4, v67
	v_fmac_f16_e32 v0, -0.5, v89
	v_sub_f16_e32 v86, v14, v15
	v_sub_f16_e32 v89, v19, v21
	v_fmac_f16_e32 v84, 0x34f2, v24
	v_fmac_f16_e32 v7, 0x34f2, v24
	v_add_f16_e32 v24, v25, v21
	v_fmac_f16_e32 v65, 0x34f2, v75
	v_fmac_f16_e32 v26, 0x34f2, v75
	v_fmamk_f16 v25, v67, 0x3b9c, v0
	v_add_f16_e32 v75, v12, v16
	v_fmac_f16_e32 v0, 0xbb9c, v67
	v_sub_f16_e32 v15, v15, v21
	v_add_f16_e32 v21, v86, v89
	v_add_f16_e32 v86, v11, v20
	;; [unrolled: 1-line block ×4, first 2 shown]
	v_fma_f16 v75, -0.5, v75, v6
	v_fmac_f16_e32 v25, 0xb8b4, v27
	v_fmac_f16_e32 v0, 0x38b4, v27
	v_sub_f16_e32 v14, v14, v19
	v_fmac_f16_e32 v6, -0.5, v86
	v_add_f16_e32 v27, v67, v12
	v_add_f16_e32 v17, v17, v127
	v_fmac_f16_e32 v25, 0x34f2, v21
	v_fmac_f16_e32 v0, 0x34f2, v21
	v_sub_f16_e32 v21, v11, v12
	v_fmamk_f16 v86, v14, 0xbb9c, v6
	v_sub_f16_e32 v11, v12, v11
	v_sub_f16_e32 v12, v16, v20
	v_fmac_f16_e32 v6, 0x3b9c, v14
	v_fmamk_f16 v67, v15, 0x3b9c, v75
	v_add_f16_e32 v19, v27, v16
	v_sub_f16_e32 v27, v20, v16
	v_fmac_f16_e32 v75, 0xbb9c, v15
	v_add_f16_e32 v17, v17, v126
	v_fmac_f16_e32 v86, 0x38b4, v15
	v_add_f16_e32 v11, v11, v12
	;; [unrolled: 2-line block ×4, first 2 shown]
	v_fmac_f16_e32 v75, 0xb8b4, v14
	v_fmac_f16_e32 v86, 0x34f2, v11
	;; [unrolled: 1-line block ×3, first 2 shown]
	v_pack_b32_f16 v11, v17, v22
	v_pack_b32_f16 v13, v13, v66
	;; [unrolled: 1-line block ×6, first 2 shown]
	v_fmac_f16_e32 v67, 0x34f2, v16
	v_fmac_f16_e32 v75, 0x34f2, v16
	v_pack_b32_f16 v15, v78, v80
	v_pack_b32_f16 v16, v79, v87
	ds_write2_b32 v95, v11, v13 offset1:55
	ds_write2_b32 v95, v14, v2 offset0:110 offset1:165
	ds_write2_b32 v74, v1, v10 offset0:92 offset1:147
	;; [unrolled: 1-line block ×3, first 2 shown]
	v_pack_b32_f16 v1, v3, v8
	v_pack_b32_f16 v2, v81, v88
	;; [unrolled: 1-line block ×4, first 2 shown]
	v_add_nc_u32_e32 v10, 0x800, v137
	v_add_f16_e32 v12, v19, v20
	v_pack_b32_f16 v11, v37, v85
	v_pack_b32_f16 v4, v4, v9
	;; [unrolled: 1-line block ×5, first 2 shown]
	v_add_nc_u32_e32 v15, 0xc00, v136
	ds_write2_b32 v72, v1, v2 offset0:184 offset1:239
	ds_write2_b32 v10, v3, v8 offset0:38 offset1:93
	;; [unrolled: 1-line block ×3, first 2 shown]
	ds_write_b32 v137, v9 offset:3080
	ds_write2_b32 v15, v13, v14 offset0:57 offset1:112
	v_pack_b32_f16 v1, v33, v84
	v_pack_b32_f16 v2, v5, v7
	;; [unrolled: 1-line block ×5, first 2 shown]
	v_add_nc_u32_e32 v7, 0x1000, v138
	v_pack_b32_f16 v8, v25, v86
	v_pack_b32_f16 v0, v0, v6
	;; [unrolled: 1-line block ×3, first 2 shown]
	ds_write2_b32 v15, v1, v2 offset0:167 offset1:222
	ds_write_b32 v136, v3 offset:4180
	ds_write2_b32 v7, v4, v5 offset0:76 offset1:131
	ds_write2_b32 v7, v8, v0 offset0:186 offset1:241
	ds_write_b32 v138, v6 offset:5280
	s_waitcnt lgkmcnt(0)
	s_barrier
	buffer_gl0_inv
	ds_read2_b32 v[2:3], v95 offset1:55
	ds_read2_b32 v[0:1], v74 offset0:92 offset1:147
	ds_read2_b32 v[11:12], v71 offset0:38 offset1:93
	ds_read2_b32 v[14:15], v70 offset0:2 offset1:57
	ds_read2_b32 v[16:17], v69 offset0:76 offset1:131
	ds_read2_b32 v[18:19], v72 offset0:74 offset1:129
	ds_read2_b32 v[20:21], v70 offset0:112 offset1:167
	ds_read2_b32 v[4:5], v95 offset0:110 offset1:165
	ds_read2_b32 v[22:23], v71 offset0:148 offset1:203
	ds_read2_b32 v[24:25], v69 offset0:186 offset1:241
	ds_read2_b32 v[26:27], v72 offset0:184 offset1:239
	ds_read2_b32 v[32:33], v73 offset0:94 offset1:149
	ds_read_b32 v37, v95 offset:5280
	s_waitcnt lgkmcnt(12)
	v_lshrrev_b32_e32 v9, 16, v2
	s_waitcnt lgkmcnt(11)
	v_lshrrev_b32_e32 v13, 16, v1
	;; [unrolled: 2-line block ×6, first 2 shown]
	v_mul_f16_sdwa v79, v48, v13 dst_sel:DWORD dst_unused:UNUSED_PAD src0_sel:WORD_1 src1_sel:DWORD
	v_lshrrev_b32_e32 v39, 16, v12
	v_mul_f16_sdwa v84, v49, v34 dst_sel:DWORD dst_unused:UNUSED_PAD src0_sel:WORD_1 src1_sel:DWORD
	v_mul_f16_sdwa v85, v49, v11 dst_sel:DWORD dst_unused:UNUSED_PAD src0_sel:WORD_1 src1_sel:DWORD
	v_mul_f16_sdwa v86, v50, v35 dst_sel:DWORD dst_unused:UNUSED_PAD src0_sel:WORD_1 src1_sel:DWORD
	v_fmac_f16_e32 v79, v48, v1
	v_mul_f16_sdwa v1, v48, v1 dst_sel:DWORD dst_unused:UNUSED_PAD src0_sel:WORD_1 src1_sel:DWORD
	v_mul_f16_sdwa v87, v50, v15 dst_sel:DWORD dst_unused:UNUSED_PAD src0_sel:WORD_1 src1_sel:DWORD
	s_waitcnt lgkmcnt(6)
	v_lshrrev_b32_e32 v63, 16, v20
	v_lshrrev_b32_e32 v64, 16, v17
	v_fmac_f16_e32 v84, v49, v11
	v_fma_f16 v48, v48, v13, -v1
	v_fma_f16 v34, v49, v34, -v85
	v_fmac_f16_e32 v86, v50, v15
	v_fma_f16 v35, v50, v35, -v87
	v_mul_f16_sdwa v49, v51, v36 dst_sel:DWORD dst_unused:UNUSED_PAD src0_sel:WORD_1 src1_sel:DWORD
	v_mul_f16_sdwa v1, v51, v16 dst_sel:DWORD dst_unused:UNUSED_PAD src0_sel:WORD_1 src1_sel:DWORD
	;; [unrolled: 1-line block ×5, first 2 shown]
	v_lshrrev_b32_e32 v65, 16, v19
	s_waitcnt lgkmcnt(4)
	v_lshrrev_b32_e32 v66, 16, v22
	v_fmac_f16_e32 v49, v51, v16
	v_fma_f16 v36, v51, v36, -v1
	v_fmac_f16_e32 v50, v52, v18
	v_fma_f16 v38, v52, v38, -v11
	v_fmac_f16_e32 v85, v53, v12
	v_mul_f16_sdwa v1, v53, v12 dst_sel:DWORD dst_unused:UNUSED_PAD src0_sel:WORD_1 src1_sel:DWORD
	v_mul_f16_sdwa v51, v54, v63 dst_sel:DWORD dst_unused:UNUSED_PAD src0_sel:WORD_1 src1_sel:DWORD
	;; [unrolled: 1-line block ×5, first 2 shown]
	v_lshrrev_b32_e32 v67, 16, v21
	s_waitcnt lgkmcnt(2)
	v_lshrrev_b32_e32 v75, 16, v26
	v_fma_f16 v39, v53, v39, -v1
	v_fmac_f16_e32 v51, v54, v20
	v_fma_f16 v53, v54, v63, -v11
	v_fmac_f16_e32 v52, v55, v17
	v_fma_f16 v54, v55, v64, -v12
	v_mul_f16_sdwa v55, v44, v65 dst_sel:DWORD dst_unused:UNUSED_PAD src0_sel:WORD_1 src1_sel:DWORD
	v_mul_f16_sdwa v1, v44, v19 dst_sel:DWORD dst_unused:UNUSED_PAD src0_sel:WORD_1 src1_sel:DWORD
	;; [unrolled: 1-line block ×4, first 2 shown]
	v_lshrrev_b32_e32 v68, 16, v24
	v_lshrrev_b32_e32 v76, 16, v23
	v_mul_f16_sdwa v64, v46, v67 dst_sel:DWORD dst_unused:UNUSED_PAD src0_sel:WORD_1 src1_sel:DWORD
	v_fmac_f16_e32 v55, v44, v19
	v_fma_f16 v44, v44, v65, -v1
	v_fmac_f16_e32 v63, v45, v22
	v_fma_f16 v22, v45, v66, -v11
	v_mul_f16_sdwa v1, v46, v21 dst_sel:DWORD dst_unused:UNUSED_PAD src0_sel:WORD_1 src1_sel:DWORD
	v_mul_f16_sdwa v45, v40, v75 dst_sel:DWORD dst_unused:UNUSED_PAD src0_sel:WORD_1 src1_sel:DWORD
	;; [unrolled: 1-line block ×3, first 2 shown]
	s_waitcnt lgkmcnt(1)
	v_lshrrev_b32_e32 v77, 16, v32
	v_lshrrev_b32_e32 v78, 16, v25
	v_fmac_f16_e32 v64, v46, v21
	v_mul_f16_sdwa v21, v47, v68 dst_sel:DWORD dst_unused:UNUSED_PAD src0_sel:WORD_1 src1_sel:DWORD
	v_mul_f16_sdwa v11, v47, v24 dst_sel:DWORD dst_unused:UNUSED_PAD src0_sel:WORD_1 src1_sel:DWORD
	v_fma_f16 v46, v46, v67, -v1
	v_fmac_f16_e32 v45, v40, v26
	v_fma_f16 v26, v40, v75, -v12
	v_mul_f16_sdwa v40, v41, v76 dst_sel:DWORD dst_unused:UNUSED_PAD src0_sel:WORD_1 src1_sel:DWORD
	v_mul_f16_sdwa v1, v41, v23 dst_sel:DWORD dst_unused:UNUSED_PAD src0_sel:WORD_1 src1_sel:DWORD
	v_lshrrev_b32_e32 v80, 16, v27
	v_lshrrev_b32_e32 v81, 16, v14
	v_fmac_f16_e32 v21, v47, v24
	v_fma_f16 v24, v47, v68, -v11
	v_mul_f16_sdwa v47, v42, v77 dst_sel:DWORD dst_unused:UNUSED_PAD src0_sel:WORD_1 src1_sel:DWORD
	v_mul_f16_sdwa v11, v42, v32 dst_sel:DWORD dst_unused:UNUSED_PAD src0_sel:WORD_1 src1_sel:DWORD
	;; [unrolled: 1-line block ×3, first 2 shown]
	v_fmac_f16_e32 v40, v41, v23
	v_fma_f16 v23, v41, v76, -v1
	v_mul_f16_sdwa v1, v43, v25 dst_sel:DWORD dst_unused:UNUSED_PAD src0_sel:WORD_1 src1_sel:DWORD
	v_lshrrev_b32_e32 v82, 16, v33
	v_fmac_f16_e32 v47, v42, v32
	v_fma_f16 v32, v42, v77, -v11
	v_fmac_f16_e32 v65, v43, v25
	v_mul_f16_sdwa v15, v28, v80 dst_sel:DWORD dst_unused:UNUSED_PAD src0_sel:WORD_1 src1_sel:DWORD
	v_mul_f16_sdwa v11, v28, v27 dst_sel:DWORD dst_unused:UNUSED_PAD src0_sel:WORD_1 src1_sel:DWORD
	v_mul_f16_sdwa v13, v29, v81 dst_sel:DWORD dst_unused:UNUSED_PAD src0_sel:WORD_1 src1_sel:DWORD
	v_fma_f16 v25, v43, v78, -v1
	v_add_f16_e32 v1, v84, v86
	s_waitcnt lgkmcnt(0)
	v_lshrrev_b32_e32 v83, 16, v37
	v_mul_f16_sdwa v12, v29, v14 dst_sel:DWORD dst_unused:UNUSED_PAD src0_sel:WORD_1 src1_sel:DWORD
	v_fmac_f16_e32 v15, v28, v27
	v_fma_f16 v11, v28, v80, -v11
	v_fmac_f16_e32 v13, v29, v14
	v_mul_f16_sdwa v17, v30, v82 dst_sel:DWORD dst_unused:UNUSED_PAD src0_sel:WORD_1 src1_sel:DWORD
	v_mul_f16_sdwa v14, v30, v33 dst_sel:DWORD dst_unused:UNUSED_PAD src0_sel:WORD_1 src1_sel:DWORD
	v_fma_f16 v1, -0.5, v1, v2
	v_sub_f16_e32 v28, v48, v36
	v_fma_f16 v12, v29, v81, -v12
	v_mul_f16_sdwa v27, v31, v83 dst_sel:DWORD dst_unused:UNUSED_PAD src0_sel:WORD_1 src1_sel:DWORD
	v_fmac_f16_e32 v17, v30, v33
	v_fma_f16 v16, v30, v82, -v14
	v_fmamk_f16 v14, v28, 0xbb9c, v1
	v_sub_f16_e32 v29, v34, v35
	v_sub_f16_e32 v19, v79, v84
	;; [unrolled: 1-line block ×3, first 2 shown]
	v_add_f16_e32 v30, v79, v49
	v_mul_f16_sdwa v33, v31, v37 dst_sel:DWORD dst_unused:UNUSED_PAD src0_sel:WORD_1 src1_sel:DWORD
	v_fmac_f16_e32 v1, 0x3b9c, v28
	v_add_f16_e32 v18, v2, v79
	v_fmac_f16_e32 v27, v31, v37
	v_fmac_f16_e32 v14, 0xb8b4, v29
	v_add_f16_e32 v37, v19, v20
	v_fma_f16 v2, -0.5, v30, v2
	v_fma_f16 v20, v31, v83, -v33
	v_sub_f16_e32 v30, v84, v79
	v_sub_f16_e32 v31, v86, v49
	v_fmac_f16_e32 v1, 0x38b4, v29
	v_add_f16_e32 v33, v9, v48
	v_add_f16_e32 v41, v34, v35
	;; [unrolled: 1-line block ×3, first 2 shown]
	v_fmac_f16_e32 v14, 0x34f2, v37
	v_fmamk_f16 v19, v29, 0x3b9c, v2
	v_add_f16_e32 v30, v30, v31
	v_fmac_f16_e32 v2, 0xbb9c, v29
	v_add_f16_e32 v29, v33, v34
	v_fma_f16 v31, -0.5, v41, v9
	v_sub_f16_e32 v33, v79, v49
	v_fmac_f16_e32 v1, 0x34f2, v37
	v_add_f16_e32 v37, v48, v36
	v_add_f16_e32 v18, v18, v86
	v_fmac_f16_e32 v19, 0xb8b4, v28
	v_fmac_f16_e32 v2, 0x38b4, v28
	v_add_f16_e32 v28, v29, v35
	v_fmamk_f16 v29, v33, 0x3b9c, v31
	v_sub_f16_e32 v41, v84, v86
	v_sub_f16_e32 v42, v48, v34
	;; [unrolled: 1-line block ×3, first 2 shown]
	v_fmac_f16_e32 v9, -0.5, v37
	v_fmac_f16_e32 v31, 0xbb9c, v33
	v_sub_f16_e32 v34, v34, v48
	v_sub_f16_e32 v35, v35, v36
	v_add_f16_e32 v18, v18, v49
	v_fmac_f16_e32 v19, 0x34f2, v30
	v_fmac_f16_e32 v2, 0x34f2, v30
	v_add_f16_e32 v28, v28, v36
	v_fmac_f16_e32 v29, 0x38b4, v41
	v_add_f16_e32 v30, v42, v43
	v_fmamk_f16 v37, v41, 0xbb9c, v9
	v_add_f16_e32 v36, v85, v51
	v_fmac_f16_e32 v31, 0xb8b4, v41
	v_add_f16_e32 v34, v34, v35
	v_add_f16_e32 v35, v3, v50
	v_fmac_f16_e32 v9, 0x3b9c, v41
	v_add_f16_e32 v49, v50, v52
	v_lshrrev_b32_e32 v7, 16, v3
	v_fmac_f16_e32 v29, 0x34f2, v30
	v_fmac_f16_e32 v37, 0x38b4, v33
	v_fma_f16 v36, -0.5, v36, v3
	v_sub_f16_e32 v42, v38, v54
	v_fmac_f16_e32 v31, 0x34f2, v30
	v_add_f16_e32 v30, v35, v85
	v_sub_f16_e32 v41, v39, v53
	v_sub_f16_e32 v43, v50, v85
	;; [unrolled: 1-line block ×3, first 2 shown]
	v_fmac_f16_e32 v9, 0xb8b4, v33
	v_fmac_f16_e32 v3, -0.5, v49
	v_fmac_f16_e32 v37, 0x34f2, v34
	v_fmamk_f16 v35, v42, 0xbb9c, v36
	v_add_f16_e32 v30, v30, v51
	v_add_f16_e32 v33, v43, v48
	v_fmac_f16_e32 v9, 0x34f2, v34
	v_fmac_f16_e32 v36, 0x3b9c, v42
	v_fmamk_f16 v34, v41, 0x3b9c, v3
	v_sub_f16_e32 v43, v85, v50
	v_sub_f16_e32 v48, v51, v52
	v_add_f16_e32 v49, v7, v38
	v_add_f16_e32 v66, v39, v53
	v_fmac_f16_e32 v3, 0xbb9c, v41
	v_fmac_f16_e32 v35, 0xb8b4, v41
	v_add_f16_e32 v30, v30, v52
	v_fmac_f16_e32 v36, 0x38b4, v41
	v_fmac_f16_e32 v34, 0xb8b4, v42
	v_add_f16_e32 v43, v43, v48
	v_add_f16_e32 v41, v49, v39
	v_fma_f16 v48, -0.5, v66, v7
	v_sub_f16_e32 v49, v50, v52
	v_fmac_f16_e32 v3, 0x38b4, v42
	v_add_f16_e32 v42, v38, v54
	v_sub_f16_e32 v50, v85, v51
	v_sub_f16_e32 v51, v38, v39
	;; [unrolled: 1-line block ×5, first 2 shown]
	v_fmac_f16_e32 v35, 0x34f2, v33
	v_fmac_f16_e32 v36, 0x34f2, v33
	v_add_f16_e32 v33, v41, v53
	v_fmamk_f16 v41, v49, 0x3b9c, v48
	v_fmac_f16_e32 v7, -0.5, v42
	v_add_f16_e32 v42, v51, v52
	v_fmac_f16_e32 v48, 0xbb9c, v49
	v_add_f16_e32 v51, v63, v64
	v_add_f16_e32 v38, v38, v39
	v_add_f16_e32 v39, v4, v55
	v_lshrrev_b32_e32 v10, 16, v4
	v_fmac_f16_e32 v34, 0x34f2, v43
	v_fmac_f16_e32 v3, 0x34f2, v43
	;; [unrolled: 1-line block ×3, first 2 shown]
	v_fmamk_f16 v43, v50, 0xbb9c, v7
	v_fmac_f16_e32 v48, 0xb8b4, v50
	v_fma_f16 v51, -0.5, v51, v4
	v_sub_f16_e32 v52, v44, v24
	v_fmac_f16_e32 v7, 0x3b9c, v50
	v_add_f16_e32 v39, v39, v63
	v_add_f16_e32 v66, v55, v21
	;; [unrolled: 1-line block ×3, first 2 shown]
	v_fmac_f16_e32 v41, 0x34f2, v42
	v_fmac_f16_e32 v43, 0x38b4, v49
	;; [unrolled: 1-line block ×3, first 2 shown]
	v_fmamk_f16 v42, v52, 0xbb9c, v51
	v_sub_f16_e32 v50, v22, v46
	v_sub_f16_e32 v53, v55, v63
	;; [unrolled: 1-line block ×3, first 2 shown]
	v_fmac_f16_e32 v7, 0xb8b4, v49
	v_add_f16_e32 v39, v39, v64
	v_fma_f16 v4, -0.5, v66, v4
	v_fmac_f16_e32 v51, 0x3b9c, v52
	v_add_f16_e32 v66, v10, v44
	v_fmac_f16_e32 v43, 0x34f2, v38
	v_fmac_f16_e32 v42, 0xb8b4, v50
	v_add_f16_e32 v49, v53, v54
	v_fmac_f16_e32 v7, 0x34f2, v38
	v_add_f16_e32 v38, v39, v21
	v_fmamk_f16 v39, v50, 0x3b9c, v4
	v_sub_f16_e32 v53, v63, v55
	v_sub_f16_e32 v54, v64, v21
	v_fmac_f16_e32 v51, 0x38b4, v50
	v_add_f16_e32 v67, v22, v46
	v_fmac_f16_e32 v4, 0xbb9c, v50
	v_add_f16_e32 v50, v66, v22
	v_fmac_f16_e32 v42, 0x34f2, v49
	v_fmac_f16_e32 v39, 0xb8b4, v52
	v_add_f16_e32 v53, v53, v54
	v_fma_f16 v54, -0.5, v67, v10
	v_sub_f16_e32 v21, v55, v21
	v_fmac_f16_e32 v51, 0x34f2, v49
	v_fmac_f16_e32 v4, 0x38b4, v52
	v_add_f16_e32 v49, v50, v46
	v_add_f16_e32 v52, v44, v24
	v_fmamk_f16 v50, v21, 0x3b9c, v54
	v_sub_f16_e32 v55, v63, v64
	v_sub_f16_e32 v63, v44, v22
	;; [unrolled: 1-line block ×3, first 2 shown]
	v_fmac_f16_e32 v10, -0.5, v52
	v_add_f16_e32 v49, v49, v24
	v_fmac_f16_e32 v54, 0xbb9c, v21
	v_sub_f16_e32 v22, v22, v44
	v_sub_f16_e32 v24, v46, v24
	v_add_f16_e32 v44, v40, v47
	v_lshrrev_b32_e32 v8, 16, v5
	v_fmac_f16_e32 v39, 0x34f2, v53
	v_fmac_f16_e32 v4, 0x34f2, v53
	;; [unrolled: 1-line block ×3, first 2 shown]
	v_add_f16_e32 v52, v63, v64
	v_fmamk_f16 v53, v55, 0xbb9c, v10
	v_fmac_f16_e32 v54, 0xb8b4, v55
	v_add_f16_e32 v22, v22, v24
	v_add_f16_e32 v24, v5, v45
	v_fma_f16 v44, -0.5, v44, v5
	v_sub_f16_e32 v46, v26, v25
	v_fmac_f16_e32 v10, 0x3b9c, v55
	v_add_f16_e32 v66, v45, v65
	v_fmac_f16_e32 v50, 0x34f2, v52
	v_fmac_f16_e32 v53, 0x38b4, v21
	;; [unrolled: 1-line block ×3, first 2 shown]
	v_add_f16_e32 v24, v24, v40
	v_fmamk_f16 v52, v46, 0xbb9c, v44
	v_sub_f16_e32 v55, v23, v32
	v_sub_f16_e32 v63, v45, v40
	;; [unrolled: 1-line block ×3, first 2 shown]
	v_fmac_f16_e32 v10, 0xb8b4, v21
	v_fmac_f16_e32 v5, -0.5, v66
	v_fmac_f16_e32 v44, 0x3b9c, v46
	v_add_f16_e32 v66, v8, v26
	v_fmac_f16_e32 v53, 0x34f2, v22
	v_add_f16_e32 v21, v24, v47
	;; [unrolled: 2-line block ×3, first 2 shown]
	v_fmac_f16_e32 v10, 0x34f2, v22
	v_fmamk_f16 v22, v55, 0x3b9c, v5
	v_sub_f16_e32 v63, v40, v45
	v_sub_f16_e32 v64, v47, v65
	v_fmac_f16_e32 v44, 0x38b4, v55
	v_add_f16_e32 v67, v23, v32
	v_fmac_f16_e32 v5, 0xbb9c, v55
	v_add_f16_e32 v55, v66, v23
	;; [unrolled: 2-line block ×3, first 2 shown]
	v_fma_f16 v64, -0.5, v67, v8
	v_sub_f16_e32 v45, v45, v65
	v_fmac_f16_e32 v44, 0x34f2, v24
	v_add_f16_e32 v24, v55, v32
	v_add_f16_e32 v55, v26, v25
	;; [unrolled: 1-line block ×3, first 2 shown]
	v_fmac_f16_e32 v22, 0xb8b4, v46
	v_fmac_f16_e32 v5, 0x38b4, v46
	v_fmamk_f16 v46, v45, 0x3b9c, v64
	v_sub_f16_e32 v40, v40, v47
	v_sub_f16_e32 v47, v26, v23
	v_sub_f16_e32 v65, v25, v32
	v_fmac_f16_e32 v8, -0.5, v55
	v_add_f16_e32 v24, v24, v25
	v_fmac_f16_e32 v64, 0xbb9c, v45
	v_sub_f16_e32 v23, v23, v26
	v_sub_f16_e32 v25, v32, v25
	v_add_f16_e32 v26, v13, v17
	v_fmac_f16_e32 v46, 0x38b4, v40
	v_add_f16_e32 v47, v47, v65
	v_fmamk_f16 v55, v40, 0xbb9c, v8
	v_fmac_f16_e32 v64, 0xb8b4, v40
	v_add_f16_e32 v23, v23, v25
	v_fmac_f16_e32 v8, 0x3b9c, v40
	v_add_f16_e32 v25, v0, v15
	v_fma_f16 v26, -0.5, v26, v0
	v_sub_f16_e32 v32, v11, v20
	v_fmac_f16_e32 v22, 0x34f2, v63
	v_fmac_f16_e32 v5, 0x34f2, v63
	;; [unrolled: 1-line block ×6, first 2 shown]
	v_add_f16_e32 v25, v25, v13
	v_fmamk_f16 v40, v32, 0xbb9c, v26
	v_sub_f16_e32 v45, v12, v16
	v_sub_f16_e32 v47, v15, v13
	;; [unrolled: 1-line block ×3, first 2 shown]
	v_fmac_f16_e32 v26, 0x3b9c, v32
	v_add_f16_e32 v65, v15, v27
	v_lshrrev_b32_e32 v6, 16, v0
	v_add_f16_e32 v25, v25, v17
	v_fmac_f16_e32 v40, 0xb8b4, v45
	v_add_f16_e32 v47, v47, v63
	v_fmac_f16_e32 v26, 0x38b4, v45
	v_fmac_f16_e32 v0, -0.5, v65
	v_sub_f16_e32 v63, v13, v15
	v_sub_f16_e32 v65, v17, v27
	v_fmac_f16_e32 v55, 0x34f2, v23
	v_fmac_f16_e32 v8, 0x34f2, v23
	v_add_f16_e32 v23, v25, v27
	v_fmac_f16_e32 v40, 0x34f2, v47
	v_fmac_f16_e32 v26, 0x34f2, v47
	v_fmamk_f16 v25, v45, 0x3b9c, v0
	v_add_f16_e32 v47, v12, v16
	v_fmac_f16_e32 v0, 0xbb9c, v45
	v_sub_f16_e32 v15, v15, v27
	v_add_f16_e32 v27, v63, v65
	v_add_f16_e32 v63, v11, v20
	;; [unrolled: 1-line block ×3, first 2 shown]
	v_fma_f16 v47, -0.5, v47, v6
	v_fmac_f16_e32 v25, 0xb8b4, v32
	v_fmac_f16_e32 v0, 0x38b4, v32
	v_sub_f16_e32 v13, v13, v17
	v_fmac_f16_e32 v6, -0.5, v63
	v_add_f16_e32 v32, v45, v12
	v_fmac_f16_e32 v25, 0x34f2, v27
	v_fmac_f16_e32 v0, 0x34f2, v27
	v_sub_f16_e32 v27, v11, v12
	v_fmamk_f16 v63, v13, 0xbb9c, v6
	v_sub_f16_e32 v11, v12, v11
	v_sub_f16_e32 v12, v16, v20
	v_fmac_f16_e32 v6, 0x3b9c, v13
	v_fmamk_f16 v45, v15, 0x3b9c, v47
	v_fmac_f16_e32 v47, 0xbb9c, v15
	v_add_f16_e32 v17, v32, v16
	v_sub_f16_e32 v32, v20, v16
	v_fmac_f16_e32 v63, 0x38b4, v15
	v_add_f16_e32 v11, v11, v12
	v_fmac_f16_e32 v6, 0xb8b4, v15
	v_fmac_f16_e32 v45, 0x38b4, v13
	;; [unrolled: 1-line block ×3, first 2 shown]
	v_pack_b32_f16 v13, v14, v29
	v_add_f16_e32 v16, v27, v32
	v_pack_b32_f16 v14, v19, v37
	v_pack_b32_f16 v2, v2, v9
	;; [unrolled: 1-line block ×3, first 2 shown]
	v_fmac_f16_e32 v63, 0x34f2, v11
	v_fmac_f16_e32 v6, 0x34f2, v11
	v_pack_b32_f16 v11, v18, v28
	v_pack_b32_f16 v9, v30, v33
	v_add_f16_e32 v12, v17, v20
	ds_write_b32 v95, v13 offset:1100
	ds_write_b32 v95, v14 offset:2200
	ds_write_b32 v95, v2 offset:3300
	ds_write_b32 v95, v1 offset:4400
	ds_write2_b32 v95, v11, v9 offset1:55
	v_pack_b32_f16 v1, v35, v41
	v_pack_b32_f16 v11, v42, v50
	v_fmac_f16_e32 v45, 0x34f2, v16
	v_pack_b32_f16 v2, v34, v43
	v_pack_b32_f16 v13, v39, v53
	v_pack_b32_f16 v3, v3, v7
	v_pack_b32_f16 v4, v4, v10
	v_pack_b32_f16 v7, v36, v48
	v_pack_b32_f16 v10, v51, v54
	v_fmac_f16_e32 v47, 0x34f2, v16
	v_pack_b32_f16 v9, v38, v49
	v_pack_b32_f16 v14, v21, v24
	ds_write2_b32 v72, v1, v11 offset0:74 offset1:129
	ds_write2_b32 v71, v2, v13 offset0:93 offset1:148
	;; [unrolled: 1-line block ×5, first 2 shown]
	v_pack_b32_f16 v3, v5, v8
	v_pack_b32_f16 v5, v23, v12
	;; [unrolled: 1-line block ×6, first 2 shown]
	v_add_nc_u32_e32 v7, 0xa00, v95
	v_pack_b32_f16 v0, v0, v6
	v_pack_b32_f16 v4, v44, v64
	;; [unrolled: 1-line block ×3, first 2 shown]
	v_add_nc_u32_e32 v14, 0x1200, v95
	ds_write_b32 v95, v5 offset:880
	ds_write2_b32 v72, v1, v8 offset0:184 offset1:239
	ds_write2_b32 v7, v2, v9 offset0:75 offset1:130
	;; [unrolled: 1-line block ×4, first 2 shown]
	s_waitcnt lgkmcnt(0)
	s_barrier
	buffer_gl0_inv
	ds_read2_b32 v[15:16], v95 offset1:55
	ds_read2_b32 v[5:6], v95 offset0:125 offset1:180
	v_mad_u64_u32 v[8:9], null, s10, v62, 0
	s_waitcnt lgkmcnt(1)
	v_lshrrev_b32_e32 v2, 16, v15
	v_mul_f16_sdwa v3, v119, v15 dst_sel:DWORD dst_unused:UNUSED_PAD src0_sel:WORD_1 src1_sel:DWORD
	s_waitcnt lgkmcnt(0)
	v_lshrrev_b32_e32 v17, 16, v5
	v_mul_f16_sdwa v0, v119, v2 dst_sel:DWORD dst_unused:UNUSED_PAD src0_sel:WORD_1 src1_sel:DWORD
	v_fma_f16 v2, v119, v2, -v3
	v_mul_f16_sdwa v11, v118, v17 dst_sel:DWORD dst_unused:UNUSED_PAD src0_sel:WORD_1 src1_sel:DWORD
	v_fmac_f16_e32 v0, v119, v15
	v_cvt_f32_f16_e32 v2, v2
	v_fmac_f16_e32 v11, v118, v5
	v_cvt_f32_f16_e32 v0, v0
	v_cvt_f64_f32_e32 v[2:3], v2
	v_cvt_f64_f32_e32 v[0:1], v0
	v_mul_f64 v[2:3], v[2:3], s[4:5]
	v_mul_f64 v[0:1], v[0:1], s[4:5]
	v_and_or_b32 v2, 0x1ff, v3, v2
	v_lshrrev_b32_e32 v13, 8, v3
	v_bfe_u32 v18, v3, 20, 11
	v_lshrrev_b32_e32 v3, 16, v3
	v_and_or_b32 v0, 0x1ff, v1, v0
	v_lshrrev_b32_e32 v4, 8, v1
	v_bfe_u32 v10, v1, 20, 11
	v_cmp_ne_u32_e64 s0, 0, v0
	v_add_nc_u32_e32 v19, 0xfffffc10, v10
	v_cndmask_b32_e64 v0, 0, 1, s0
	v_cmp_ne_u32_e64 s0, 0, v2
	v_and_or_b32 v15, 0xffe, v4, v0
	v_sub_nc_u32_e32 v0, 0x3f1, v10
	v_cndmask_b32_e64 v2, 0, 1, s0
	v_or_b32_e32 v4, 0x1000, v15
	v_med3_i32 v0, v0, 0, 13
	v_and_or_b32 v2, 0xffe, v13, v2
	v_sub_nc_u32_e32 v13, 0x3f1, v18
	v_add_nc_u32_e32 v18, 0xfffffc10, v18
	v_lshrrev_b32_e32 v12, v0, v4
	v_or_b32_e32 v20, 0x1000, v2
	v_med3_i32 v13, v13, 0, 13
	v_cmp_gt_i32_e64 s2, 1, v18
	v_lshlrev_b32_e32 v0, v0, v12
	v_lshrrev_b32_e32 v21, v13, v20
	v_cmp_ne_u32_e64 s0, v0, v4
	v_cvt_f32_f16_e32 v4, v11
	v_cndmask_b32_e64 v0, 0, 1, s0
	v_cvt_f64_f32_e32 v[10:11], v4
	v_cmp_gt_i32_e64 s0, 1, v19
	v_or_b32_e32 v4, v12, v0
	v_lshl_or_b32 v12, v19, 12, v15
	v_mov_b32_e32 v0, v9
	v_cndmask_b32_e64 v9, v12, v4, s0
	v_lshlrev_b32_e32 v4, v13, v21
	v_mad_u64_u32 v[12:13], null, s11, v62, v[0:1]
	v_mul_f16_sdwa v0, v118, v5 dst_sel:DWORD dst_unused:UNUSED_PAD src0_sel:WORD_1 src1_sel:DWORD
	v_and_b32_e32 v5, 7, v9
	v_cmp_ne_u32_e64 s0, v4, v20
	v_lshrrev_b32_e32 v9, 2, v9
	v_fma_f16 v0, v118, v17, -v0
	v_cmp_eq_u32_e64 s1, 3, v5
	v_cndmask_b32_e64 v4, 0, 1, s0
	v_cmp_lt_i32_e64 s0, 5, v5
	v_lshl_or_b32 v17, v18, 12, v2
	v_cvt_f32_f16_e32 v0, v0
	v_or_b32_e32 v13, v21, v4
	v_mul_f64 v[4:5], v[10:11], s[4:5]
	s_or_b32 s0, s1, s0
	v_cvt_f64_f32_e32 v[10:11], v0
	v_add_co_ci_u32_e64 v0, s0, 0, v9, s0
	v_cmp_ne_u32_e64 s0, 0, v15
	v_cndmask_b32_e64 v13, v17, v13, s2
	v_cmp_eq_u32_e64 s2, 0x40f, v19
	v_cndmask_b32_e64 v9, 0, 1, s0
	v_cmp_gt_i32_e64 s0, 31, v19
	v_and_b32_e32 v15, 7, v13
	v_lshl_or_b32 v17, v9, 9, 0x7c00
	v_cndmask_b32_e64 v0, 0x7c00, v0, s0
	v_cmp_lt_i32_e64 s0, 5, v15
	v_cmp_eq_u32_e64 s1, 3, v15
	v_mov_b32_e32 v9, v12
	v_cndmask_b32_e64 v15, v0, v17, s2
	v_lshrrev_b32_e32 v0, 2, v13
	v_and_or_b32 v4, 0x1ff, v5, v4
	s_or_b32 s0, s1, s0
	v_lshrrev_b32_e32 v17, 16, v1
	v_mul_f64 v[10:11], v[10:11], s[4:5]
	v_add_co_ci_u32_e64 v12, s0, 0, v0, s0
	ds_read2_b32 v[0:1], v74 offset0:122 offset1:177
	v_cmp_ne_u32_e64 s0, 0, v4
	v_lshrrev_b32_e32 v13, 8, v5
	v_bfe_u32 v19, v5, 20, 11
	v_and_or_b32 v15, 0x8000, v17, v15
	v_lshlrev_b64 v[8:9], 2, v[8:9]
	v_cndmask_b32_e64 v4, 0, 1, s0
	v_cmp_ne_u32_e64 s0, 0, v2
	v_lshrrev_b32_e32 v5, 16, v5
	v_and_or_b32 v21, 0xffe, v13, v4
	v_cndmask_b32_e64 v2, 0, 1, s0
	v_cmp_gt_i32_e64 s0, 31, v18
	v_sub_nc_u32_e32 v4, 0x3f1, v19
	v_or_b32_e32 v22, 0x1000, v21
	v_lshl_or_b32 v2, v2, 9, 0x7c00
	v_cndmask_b32_e64 v20, 0x7c00, v12, s0
	v_cmp_eq_u32_e64 s0, 0x40f, v18
	v_mad_u64_u32 v[12:13], null, s8, v115, 0
	v_med3_i32 v4, v4, 0, 13
	v_and_or_b32 v10, 0x1ff, v11, v10
	v_cndmask_b32_e64 v2, v20, v2, s0
	s_waitcnt lgkmcnt(0)
	v_lshrrev_b32_e32 v20, 16, v0
	v_lshrrev_b32_e32 v23, 8, v11
	;; [unrolled: 1-line block ×3, first 2 shown]
	v_cmp_ne_u32_e64 s0, 0, v10
	v_and_or_b32 v18, 0x8000, v3, v2
	v_mov_b32_e32 v2, v13
	v_mul_f16_sdwa v13, v116, v20 dst_sel:DWORD dst_unused:UNUSED_PAD src0_sel:WORD_1 src1_sel:DWORD
	v_lshlrev_b32_e32 v4, v4, v17
	v_cndmask_b32_e64 v10, 0, 1, s0
	v_bfe_u32 v24, v11, 20, 11
	v_mad_u64_u32 v[2:3], null, s9, v115, v[2:3]
	v_fmac_f16_e32 v13, v116, v0
	v_cmp_ne_u32_e64 s0, v4, v22
	v_and_or_b32 v10, 0xffe, v23, v10
	v_add_nc_u32_e32 v23, 0xfffffc10, v19
	v_mul_f16_sdwa v0, v116, v0 dst_sel:DWORD dst_unused:UNUSED_PAD src0_sel:WORD_1 src1_sel:DWORD
	v_cvt_f32_f16_e32 v3, v13
	v_sub_nc_u32_e32 v13, 0x3f1, v24
	v_cndmask_b32_e64 v22, 0, 1, s0
	v_or_b32_e32 v19, 0x1000, v10
	v_cmp_gt_i32_e64 s0, 1, v23
	v_cvt_f64_f32_e32 v[3:4], v3
	v_med3_i32 v25, v13, 0, 13
	v_mov_b32_e32 v13, v2
	v_and_b32_e32 v2, 0xffff, v15
	v_or_b32_e32 v15, v17, v22
	v_lshl_or_b32 v17, v23, 12, v21
	v_lshrrev_b32_e32 v22, v25, v19
	v_fma_f16 v0, v116, v20, -v0
	v_lshl_or_b32 v26, v18, 16, v2
	v_add_nc_u32_e32 v24, 0xfffffc10, v24
	v_cndmask_b32_e64 v2, v17, v15, s0
	v_add_co_u32 v17, s0, s14, v8
	v_lshlrev_b32_e32 v15, v25, v22
	v_add_co_ci_u32_e64 v18, s0, s15, v9, s0
	v_lshlrev_b64 v[8:9], 2, v[12:13]
	v_and_b32_e32 v25, 7, v2
	v_cmp_ne_u32_e64 s0, v15, v19
	v_lshrrev_b32_e32 v2, 2, v2
	v_cvt_f32_f16_e32 v0, v0
	v_cmp_gt_i32_e64 s2, 1, v24
	v_mul_f64 v[12:13], v[3:4], s[4:5]
	v_cndmask_b32_e64 v15, 0, 1, s0
	v_add_co_u32 v8, s0, v17, v8
	v_add_co_ci_u32_e64 v9, s0, v18, v9, s0
	v_cmp_lt_i32_e64 s0, 5, v25
	v_cmp_eq_u32_e64 s1, 3, v25
	v_or_b32_e32 v3, v22, v15
	v_lshl_or_b32 v4, v24, 12, v10
	v_cvt_f64_f32_e32 v[19:20], v0
	v_lshrrev_b32_e32 v11, 16, v11
	s_or_b32 s0, s1, s0
	global_store_dword v[8:9], v26, off
	v_add_co_ci_u32_e64 v2, s0, 0, v2, s0
	v_cmp_ne_u32_e64 s0, 0, v21
	v_cndmask_b32_e64 v4, v4, v3, s2
	v_cndmask_b32_e64 v3, 0, 1, s0
	v_and_or_b32 v12, 0x1ff, v13, v12
	v_cmp_gt_i32_e64 s0, 31, v23
	v_and_b32_e32 v15, 7, v4
	v_lshrrev_b32_e32 v4, 2, v4
	v_lshl_or_b32 v21, v3, 9, 0x7c00
	v_cmp_ne_u32_e64 s2, 0, v12
	v_cndmask_b32_e64 v0, 0x7c00, v2, s0
	ds_read2_b32 v[2:3], v72 offset0:119 offset1:174
	v_cmp_lt_i32_e64 s0, 5, v15
	v_cmp_eq_u32_e64 s1, 3, v15
	v_cndmask_b32_e64 v12, 0, 1, s2
	v_cmp_eq_u32_e64 s2, 0x40f, v23
	v_lshrrev_b32_e32 v15, 8, v13
	v_mul_f64 v[19:20], v[19:20], s[4:5]
	s_or_b32 s0, s1, s0
	s_mul_i32 s1, s9, 0x7d
	v_cndmask_b32_e64 v0, v0, v21, s2
	v_bfe_u32 v21, v13, 20, 11
	v_add_co_ci_u32_e64 v4, s0, 0, v4, s0
	v_cmp_ne_u32_e64 s0, 0, v10
	v_and_or_b32 v12, 0xffe, v15, v12
	v_sub_nc_u32_e32 v15, 0x3f1, v21
	v_and_or_b32 v0, 0x8000, v5, v0
	s_mul_hi_u32 s2, s8, 0x7d
	v_cndmask_b32_e64 v10, 0, 1, s0
	v_cmp_gt_i32_e64 s0, 31, v24
	v_or_b32_e32 v22, 0x1000, v12
	v_med3_i32 v15, v15, 0, 13
	s_waitcnt lgkmcnt(0)
	v_lshrrev_b32_e32 v23, 16, v2
	v_lshl_or_b32 v10, v10, 9, 0x7c00
	v_cndmask_b32_e64 v4, 0x7c00, v4, s0
	v_cmp_eq_u32_e64 s0, 0x40f, v24
	v_lshrrev_b32_e32 v25, v15, v22
	s_add_i32 s3, s2, s1
	v_and_b32_e32 v0, 0xffff, v0
	s_mul_i32 s2, s8, 0x7d
	v_cndmask_b32_e64 v4, v4, v10, s0
	v_mul_f16_sdwa v10, v117, v23 dst_sel:DWORD dst_unused:UNUSED_PAD src0_sel:WORD_1 src1_sel:DWORD
	v_lshlrev_b32_e32 v15, v15, v25
	s_lshl_b64 s[10:11], s[2:3], 2
	v_and_or_b32 v24, 0x8000, v11, v4
	v_fmac_f16_e32 v10, v117, v2
	v_cmp_ne_u32_e64 s0, v15, v22
	v_add_nc_u32_e32 v15, 0xfffffc10, v21
	v_lshrrev_b32_e32 v21, 8, v20
	v_mul_f16_sdwa v2, v117, v2 dst_sel:DWORD dst_unused:UNUSED_PAD src0_sel:WORD_1 src1_sel:DWORD
	v_cvt_f32_f16_e32 v5, v10
	v_and_or_b32 v10, 0x1ff, v20, v19
	v_cndmask_b32_e64 v4, 0, 1, s0
	v_lshl_or_b32 v19, v15, 12, v12
	v_fma_f16 v2, v117, v23, -v2
	v_lshl_or_b32 v0, v24, 16, v0
	v_cmp_ne_u32_e64 s0, 0, v10
	v_or_b32_e32 v11, v25, v4
	v_cvt_f64_f32_e32 v[4:5], v5
	v_bfe_u32 v25, v20, 20, 11
	v_cvt_f32_f16_e32 v2, v2
	v_cndmask_b32_e64 v10, 0, 1, s0
	v_cmp_gt_i32_e64 s0, 1, v15
	v_and_or_b32 v26, 0xffe, v21, v10
	v_sub_nc_u32_e32 v10, 0x3f1, v25
	v_cndmask_b32_e64 v19, v19, v11, s0
	v_or_b32_e32 v27, 0x1000, v26
	v_med3_i32 v21, v10, 0, 13
	v_and_b32_e32 v11, 7, v19
	v_lshrrev_b32_e32 v23, v21, v27
	v_cmp_lt_i32_e64 s0, 5, v11
	v_cmp_eq_u32_e64 s1, 3, v11
	v_mul_f64 v[10:11], v[4:5], s[4:5]
	v_lshrrev_b32_e32 v4, 2, v19
	v_lshlrev_b32_e32 v5, v21, v23
	v_cvt_f64_f32_e32 v[21:22], v2
	s_or_b32 s0, s1, s0
	v_add_nc_u32_e32 v19, 0xfffffc10, v25
	v_add_co_ci_u32_e64 v2, s0, 0, v4, s0
	v_cmp_ne_u32_e64 s0, v5, v27
	v_add_nc_u32_e32 v5, 0x600, v95
	v_lshl_or_b32 v24, v19, 12, v26
	v_cndmask_b32_e64 v4, 0, 1, s0
	v_cmp_ne_u32_e64 s0, 0, v12
	v_or_b32_e32 v23, v23, v4
	v_cndmask_b32_e64 v12, 0, 1, s0
	v_cmp_gt_i32_e64 s0, 31, v15
	ds_read2_b32 v[4:5], v5 offset0:116 offset1:171
	v_and_or_b32 v10, 0x1ff, v11, v10
	v_bfe_u32 v25, v11, 20, 11
	v_lshl_or_b32 v12, v12, 9, 0x7c00
	v_cndmask_b32_e64 v2, 0x7c00, v2, s0
	v_cmp_gt_i32_e64 s0, 1, v19
	v_cndmask_b32_e64 v23, v24, v23, s0
	v_cmp_eq_u32_e64 s0, 0x40f, v15
	v_lshrrev_b32_e32 v15, 16, v13
	v_and_b32_e32 v24, 7, v23
	v_cndmask_b32_e64 v2, v2, v12, s0
	v_mul_f64 v[12:13], v[21:22], s[4:5]
	v_cmp_ne_u32_e64 s0, 0, v10
	v_lshrrev_b32_e32 v21, 8, v11
	v_cmp_eq_u32_e64 s1, 3, v24
	v_lshrrev_b32_e32 v22, 2, v23
	s_waitcnt lgkmcnt(0)
	v_lshrrev_b32_e32 v23, 16, v4
	v_cndmask_b32_e64 v10, 0, 1, s0
	v_cmp_lt_i32_e64 s0, 5, v24
	v_and_or_b32 v2, 0x8000, v15, v2
	v_lshrrev_b32_e32 v11, 16, v11
	v_mul_f16_sdwa v27, v113, v23 dst_sel:DWORD dst_unused:UNUSED_PAD src0_sel:WORD_1 src1_sel:DWORD
	v_and_or_b32 v10, 0xffe, v21, v10
	s_or_b32 s0, s1, s0
	v_sub_nc_u32_e32 v21, 0x3f1, v25
	v_add_co_ci_u32_e64 v22, s0, 0, v22, s0
	v_cmp_gt_i32_e64 s0, 31, v19
	v_or_b32_e32 v24, 0x1000, v10
	v_med3_i32 v21, v21, 0, 13
	v_fmac_f16_e32 v27, v113, v4
	v_add_nc_u32_e32 v25, 0xfffffc10, v25
	v_cndmask_b32_e64 v15, 0x7c00, v22, s0
	v_and_or_b32 v12, 0x1ff, v13, v12
	v_cmp_ne_u32_e64 s0, 0, v26
	v_lshrrev_b32_e32 v28, v21, v24
	v_bfe_u32 v30, v13, 20, 11
	v_mul_f16_sdwa v4, v113, v4 dst_sel:DWORD dst_unused:UNUSED_PAD src0_sel:WORD_1 src1_sel:DWORD
	v_and_b32_e32 v2, 0xffff, v2
	v_cndmask_b32_e64 v26, 0, 1, s0
	v_cmp_ne_u32_e64 s0, 0, v12
	v_lshlrev_b32_e32 v29, v21, v28
	v_cvt_f32_f16_e32 v21, v27
	v_lshrrev_b32_e32 v27, 8, v13
	v_lshl_or_b32 v26, v26, 9, 0x7c00
	v_cndmask_b32_e64 v12, 0, 1, s0
	v_cmp_ne_u32_e64 s0, v29, v24
	v_cvt_f64_f32_e32 v[21:22], v21
	v_fma_f16 v4, v113, v23, -v4
	v_cmp_eq_u32_e64 s2, 0x40f, v25
	v_and_or_b32 v12, 0xffe, v27, v12
	v_sub_nc_u32_e32 v27, 0x3f1, v30
	v_cndmask_b32_e64 v24, 0, 1, s0
	v_cmp_eq_u32_e64 s0, 0x40f, v19
	v_lshrrev_b32_e32 v19, 16, v20
	v_or_b32_e32 v29, 0x1000, v12
	v_med3_i32 v27, v27, 0, 13
	v_or_b32_e32 v24, v28, v24
	v_lshl_or_b32 v28, v25, 12, v10
	v_cndmask_b32_e64 v15, v15, v26, s0
	v_cmp_gt_i32_e64 s0, 1, v25
	v_lshrrev_b32_e32 v26, v27, v29
	v_cvt_f32_f16_e32 v4, v4
	v_lshrrev_b32_e32 v13, 16, v13
	v_and_or_b32 v15, 0x8000, v19, v15
	v_cndmask_b32_e64 v24, v28, v24, s0
	v_lshlrev_b32_e32 v27, v27, v26
	v_mul_f64 v[19:20], v[21:22], s[4:5]
	v_and_b32_e32 v28, 7, v24
	v_cmp_ne_u32_e64 s1, v27, v29
	v_add_co_u32 v21, s0, v8, s10
	v_add_co_ci_u32_e64 v22, s0, s11, v9, s0
	v_cmp_lt_i32_e64 s0, 5, v28
	v_cndmask_b32_e64 v8, 0, 1, s1
	v_cmp_eq_u32_e64 s1, 3, v28
	v_lshrrev_b32_e32 v9, 2, v24
	v_lshl_or_b32 v2, v15, 16, v2
	v_add_nc_u32_e32 v15, 0xfffffc10, v30
	v_cvt_f64_f32_e32 v[23:24], v4
	s_or_b32 s0, s1, s0
	v_or_b32_e32 v8, v26, v8
	v_add_co_ci_u32_e64 v4, s0, 0, v9, s0
	v_lshl_or_b32 v26, v15, 12, v12
	v_cmp_gt_i32_e64 s0, 1, v15
	v_and_or_b32 v9, 0x1ff, v20, v19
	v_bfe_u32 v28, v20, 20, 11
	v_cndmask_b32_e64 v8, v26, v8, s0
	v_cmp_gt_i32_e64 s0, 31, v25
	v_lshrrev_b32_e32 v26, 8, v20
	v_lshrrev_b32_e32 v20, 16, v20
	v_and_b32_e32 v19, 7, v8
	v_cndmask_b32_e64 v4, 0x7c00, v4, s0
	v_cmp_ne_u32_e64 s0, 0, v10
	v_lshrrev_b32_e32 v8, 2, v8
	v_cmp_eq_u32_e64 s1, 3, v19
	v_mul_f64 v[23:24], v[23:24], s[4:5]
	v_cndmask_b32_e64 v10, 0, 1, s0
	v_cmp_ne_u32_e64 s0, 0, v9
	v_lshl_or_b32 v27, v10, 9, 0x7c00
	v_cndmask_b32_e64 v9, 0, 1, s0
	v_cmp_lt_i32_e64 s0, 5, v19
	v_cndmask_b32_e64 v4, v4, v27, s2
	v_and_or_b32 v19, 0xffe, v26, v9
	ds_read2_b32 v[9:10], v71 offset0:113 offset1:168
	v_sub_nc_u32_e32 v26, 0x3f1, v28
	s_or_b32 s0, s1, s0
	v_and_or_b32 v4, 0x8000, v11, v4
	v_add_co_ci_u32_e64 v8, s0, 0, v8, s0
	v_or_b32_e32 v25, 0x1000, v19
	v_med3_i32 v26, v26, 0, 13
	v_cmp_ne_u32_e64 s0, 0, v12
	v_and_b32_e32 v4, 0xffff, v4
	v_lshrrev_b32_e32 v27, v26, v25
	v_cndmask_b32_e64 v12, 0, 1, s0
	v_cmp_gt_i32_e64 s0, 31, v15
	v_lshlrev_b32_e32 v11, v26, v27
	v_lshl_or_b32 v12, v12, 9, 0x7c00
	v_cndmask_b32_e64 v8, 0x7c00, v8, s0
	s_waitcnt lgkmcnt(0)
	v_lshrrev_b32_e32 v29, 16, v9
	v_cmp_eq_u32_e64 s0, 0x40f, v15
	v_mul_f16_sdwa v15, v114, v29 dst_sel:DWORD dst_unused:UNUSED_PAD src0_sel:WORD_1 src1_sel:DWORD
	v_cndmask_b32_e64 v8, v8, v12, s0
	v_and_or_b32 v12, 0x1ff, v24, v23
	v_cmp_ne_u32_e64 s0, v11, v25
	v_add_nc_u32_e32 v23, 0xfffffc10, v28
	v_fmac_f16_e32 v15, v114, v9
	v_lshrrev_b32_e32 v25, 8, v24
	v_bfe_u32 v28, v24, 20, 11
	v_cndmask_b32_e64 v11, 0, 1, s0
	v_cmp_ne_u32_e64 s0, 0, v12
	v_lshl_or_b32 v26, v23, 12, v19
	v_cvt_f32_f16_e32 v15, v15
	v_and_or_b32 v8, 0x8000, v13, v8
	v_or_b32_e32 v11, v27, v11
	v_cndmask_b32_e64 v12, 0, 1, s0
	v_cmp_gt_i32_e64 s0, 1, v23
	v_and_or_b32 v27, 0xffe, v25, v12
	v_cndmask_b32_e64 v30, v26, v11, s0
	v_cvt_f64_f32_e32 v[11:12], v15
	v_sub_nc_u32_e32 v25, 0x3f1, v28
	v_or_b32_e32 v15, 0x1000, v27
	v_and_b32_e32 v32, 7, v30
	v_med3_i32 v31, v25, 0, 13
	v_add_co_u32 v25, s0, v21, s10
	v_add_co_ci_u32_e64 v26, s0, s11, v22, s0
	v_lshrrev_b32_e32 v13, v31, v15
	global_store_dword v[21:22], v0, off
	global_store_dword v[25:26], v2, off
	v_lshl_or_b32 v0, v8, 16, v4
	v_cmp_lt_i32_e64 s0, 5, v32
	v_lshlrev_b32_e32 v2, v31, v13
	v_cmp_eq_u32_e64 s1, 3, v32
	v_mul_f16_sdwa v8, v114, v9 dst_sel:DWORD dst_unused:UNUSED_PAD src0_sel:WORD_1 src1_sel:DWORD
	v_lshrrev_b32_e32 v4, 2, v30
	v_cmp_ne_u32_e64 s2, v2, v15
	v_mul_f64 v[11:12], v[11:12], s[4:5]
	v_fma_f16 v8, v114, v29, -v8
	s_or_b32 s0, s1, s0
	v_add_nc_u32_e32 v15, 0xfffffc10, v28
	v_add_co_ci_u32_e64 v4, s0, 0, v4, s0
	v_cndmask_b32_e64 v2, 0, 1, s2
	v_cmp_ne_u32_e64 s0, 0, v19
	v_cvt_f32_f16_e32 v8, v8
	v_lshl_or_b32 v9, v15, 12, v27
	v_or_b32_e32 v2, v13, v2
	v_cndmask_b32_e64 v13, 0, 1, s0
	v_cmp_gt_i32_e64 s0, 1, v15
	v_cvt_f64_f32_e32 v[21:22], v8
	v_lshl_or_b32 v13, v13, 9, 0x7c00
	v_cndmask_b32_e64 v2, v9, v2, s0
	v_add_co_u32 v25, s0, v25, s10
	v_add_co_ci_u32_e64 v26, s0, s11, v26, s0
	v_cmp_gt_i32_e64 s0, 31, v23
	ds_read2_b32 v[8:9], v7 offset0:110 offset1:165
	v_and_or_b32 v7, 0x1ff, v12, v11
	v_and_b32_e32 v19, 7, v2
	v_lshrrev_b32_e32 v2, 2, v2
	v_cndmask_b32_e64 v4, 0x7c00, v4, s0
	v_cmp_eq_u32_e64 s0, 0x40f, v23
	v_cmp_ne_u32_e64 s2, 0, v7
	v_cmp_eq_u32_e64 s1, 3, v19
	v_lshrrev_b32_e32 v11, 8, v12
	global_store_dword v[25:26], v0, off
	v_cndmask_b32_e64 v4, v4, v13, s0
	v_cmp_lt_i32_e64 s0, 5, v19
	v_cndmask_b32_e64 v7, 0, 1, s2
	v_bfe_u32 v13, v12, 20, 11
	v_mul_f64 v[21:22], v[21:22], s[4:5]
	v_and_or_b32 v4, 0x8000, v20, v4
	s_or_b32 s0, s1, s0
	v_and_or_b32 v11, 0xffe, v11, v7
	v_add_co_ci_u32_e64 v2, s0, 0, v2, s0
	v_sub_nc_u32_e32 v7, 0x3f1, v13
	v_cmp_ne_u32_e64 s0, 0, v27
	v_or_b32_e32 v23, 0x1000, v11
	s_waitcnt lgkmcnt(0)
	v_lshrrev_b32_e32 v27, 16, v8
	v_add_nc_u32_e32 v13, 0xfffffc10, v13
	v_med3_i32 v7, v7, 0, 13
	v_cndmask_b32_e64 v19, 0, 1, s0
	v_cmp_gt_i32_e64 s0, 31, v15
	v_mul_f16_sdwa v28, v112, v27 dst_sel:DWORD dst_unused:UNUSED_PAD src0_sel:WORD_1 src1_sel:DWORD
	v_and_b32_e32 v4, 0xffff, v4
	v_lshrrev_b32_e32 v29, v7, v23
	v_lshl_or_b32 v19, v19, 9, 0x7c00
	v_cndmask_b32_e64 v2, 0x7c00, v2, s0
	v_cmp_eq_u32_e64 s0, 0x40f, v15
	v_lshrrev_b32_e32 v15, 16, v24
	v_lshlrev_b32_e32 v0, v7, v29
	v_fmac_f16_e32 v28, v112, v8
	v_mul_f16_sdwa v8, v112, v8 dst_sel:DWORD dst_unused:UNUSED_PAD src0_sel:WORD_1 src1_sel:DWORD
	v_cndmask_b32_e64 v2, v2, v19, s0
	v_cmp_ne_u32_e64 s0, v0, v23
	v_cvt_f32_f16_e32 v7, v28
	v_lshl_or_b32 v23, v13, 12, v11
	v_and_or_b32 v2, 0x8000, v15, v2
	v_and_or_b32 v15, 0x1ff, v22, v21
	v_cndmask_b32_e64 v0, 0, 1, s0
	v_cvt_f64_f32_e32 v[19:20], v7
	v_bfe_u32 v21, v22, 20, 11
	v_lshl_or_b32 v2, v2, 16, v4
	v_cmp_ne_u32_e64 s0, 0, v15
	v_lshrrev_b32_e32 v15, 8, v22
	v_or_b32_e32 v0, v29, v0
	v_cndmask_b32_e64 v7, 0, 1, s0
	v_cmp_gt_i32_e64 s0, 1, v13
	v_and_or_b32 v15, 0xffe, v15, v7
	v_sub_nc_u32_e32 v7, 0x3f1, v21
	v_cndmask_b32_e64 v0, v23, v0, s0
	v_add_co_u32 v23, s0, v25, s10
	v_or_b32_e32 v4, 0x1000, v15
	v_med3_i32 v7, v7, 0, 13
	v_add_co_ci_u32_e64 v24, s0, s11, v26, s0
	v_and_b32_e32 v26, 7, v0
	v_mul_f64 v[19:20], v[19:20], s[4:5]
	v_lshrrev_b32_e32 v25, v7, v4
	global_store_dword v[23:24], v2, off
	v_lshrrev_b32_e32 v0, 2, v0
	v_cmp_lt_i32_e64 s0, 5, v26
	v_cmp_eq_u32_e64 s1, 3, v26
	v_lshlrev_b32_e32 v2, v7, v25
	v_fma_f16 v7, v112, v27, -v8
	s_or_b32 s0, s1, s0
	v_cmp_ne_u32_e64 s2, v2, v4
	v_cvt_f32_f16_e32 v7, v7
	v_add_co_ci_u32_e64 v0, s0, 0, v0, s0
	v_add_nc_u32_e32 v4, 0xfffffc10, v21
	v_cndmask_b32_e64 v2, 0, 1, s2
	v_cmp_ne_u32_e64 s0, 0, v11
	v_lshl_or_b32 v21, v4, 12, v15
	v_or_b32_e32 v2, v25, v2
	v_cvt_f64_f32_e32 v[25:26], v7
	v_cndmask_b32_e64 v11, 0, 1, s0
	v_cmp_gt_i32_e64 s0, 1, v4
	ds_read2_b32 v[7:8], v70 offset0:107 offset1:162
	v_and_or_b32 v19, 0x1ff, v20, v19
	v_lshrrev_b32_e32 v27, 8, v20
	v_lshl_or_b32 v11, v11, 9, 0x7c00
	v_cndmask_b32_e64 v2, v21, v2, s0
	v_cmp_gt_i32_e64 s0, 31, v13
	v_bfe_u32 v28, v20, 20, 11
	v_and_b32_e32 v21, 7, v2
	v_cndmask_b32_e64 v0, 0x7c00, v0, s0
	v_cmp_ne_u32_e64 s0, 0, v19
	v_lshrrev_b32_e32 v2, 2, v2
	v_cmp_eq_u32_e64 s1, 3, v21
	v_cndmask_b32_e64 v19, 0, 1, s0
	v_cmp_eq_u32_e64 s0, 0x40f, v13
	v_mul_f64 v[25:26], v[25:26], s[4:5]
	v_and_or_b32 v13, 0xffe, v27, v19
	v_cndmask_b32_e64 v0, v0, v11, s0
	v_cmp_lt_i32_e64 s0, 5, v21
	v_lshrrev_b32_e32 v11, 16, v12
	v_sub_nc_u32_e32 v12, 0x3f1, v28
	s_waitcnt lgkmcnt(0)
	v_lshrrev_b32_e32 v19, 16, v7
	v_or_b32_e32 v21, 0x1000, v13
	s_or_b32 s0, s1, s0
	v_and_or_b32 v0, 0x8000, v11, v0
	v_add_co_ci_u32_e64 v2, s0, 0, v2, s0
	v_med3_i32 v12, v12, 0, 13
	v_cmp_ne_u32_e64 s0, 0, v15
	v_mul_f16_sdwa v27, v111, v19 dst_sel:DWORD dst_unused:UNUSED_PAD src0_sel:WORD_1 src1_sel:DWORD
	v_and_b32_e32 v0, 0xffff, v0
	v_lshrrev_b32_e32 v29, v12, v21
	v_cndmask_b32_e64 v15, 0, 1, s0
	v_cmp_gt_i32_e64 s0, 31, v4
	v_fmac_f16_e32 v27, v111, v7
	v_mul_f16_sdwa v7, v111, v7 dst_sel:DWORD dst_unused:UNUSED_PAD src0_sel:WORD_1 src1_sel:DWORD
	v_lshlrev_b32_e32 v30, v12, v29
	v_lshl_or_b32 v15, v15, 9, 0x7c00
	v_cndmask_b32_e64 v2, 0x7c00, v2, s0
	v_cmp_eq_u32_e64 s0, 0x40f, v4
	v_cvt_f32_f16_e32 v27, v27
	v_and_or_b32 v4, 0x1ff, v26, v25
	v_add_nc_u32_e32 v25, 0xfffffc10, v28
	v_fma_f16 v7, v111, v19, -v7
	v_cndmask_b32_e64 v2, v2, v15, s0
	v_cmp_ne_u32_e64 s0, v30, v21
	v_cvt_f64_f32_e32 v[11:12], v27
	v_lshrrev_b32_e32 v15, 16, v22
	v_lshrrev_b32_e32 v22, 8, v26
	v_bfe_u32 v27, v26, 20, 11
	v_cndmask_b32_e64 v21, 0, 1, s0
	v_cmp_ne_u32_e64 s0, 0, v4
	v_and_or_b32 v2, 0x8000, v15, v2
	v_lshrrev_b32_e32 v26, 16, v26
	v_or_b32_e32 v15, v29, v21
	v_cndmask_b32_e64 v4, 0, 1, s0
	v_lshl_or_b32 v21, v25, 12, v13
	v_cmp_gt_i32_e64 s0, 1, v25
	v_lshl_or_b32 v0, v2, 16, v0
	v_and_or_b32 v4, 0xffe, v22, v4
	v_sub_nc_u32_e32 v22, 0x3f1, v27
	v_cndmask_b32_e64 v15, v21, v15, s0
	v_add_co_u32 v23, s0, v23, s10
	v_or_b32_e32 v28, 0x1000, v4
	v_med3_i32 v29, v22, 0, 13
	v_mul_f64 v[21:22], v[11:12], s[4:5]
	v_and_b32_e32 v2, 7, v15
	v_add_co_ci_u32_e64 v24, s0, s11, v24, s0
	v_lshrrev_b32_e32 v11, v29, v28
	v_cmp_lt_i32_e64 s0, 5, v2
	v_cmp_eq_u32_e64 s1, 3, v2
	v_cvt_f32_f16_e32 v2, v7
	v_lshlrev_b32_e32 v12, v29, v11
	v_lshrrev_b32_e32 v7, 2, v15
	v_add_nc_u32_e32 v15, 0xfffffc10, v27
	s_or_b32 s0, s1, s0
	global_store_dword v[23:24], v0, off
	v_cmp_ne_u32_e64 s2, v12, v28
	v_cvt_f64_f32_e32 v[27:28], v2
	v_add_co_ci_u32_e64 v2, s0, 0, v7, s0
	v_cmp_ne_u32_e64 s0, 0, v13
	v_cndmask_b32_e64 v12, 0, 1, s2
	v_cmp_eq_u32_e64 s2, 0x40f, v25
	v_bfe_u32 v19, v22, 20, 11
	v_cndmask_b32_e64 v13, 0, 1, s0
	v_or_b32_e32 v7, v11, v12
	v_lshl_or_b32 v11, v15, 12, v4
	v_and_or_b32 v12, 0x1ff, v22, v21
	v_cmp_gt_i32_e64 s0, 1, v15
	v_sub_nc_u32_e32 v30, 0x3f1, v19
	v_lshl_or_b32 v29, v13, 9, 0x7c00
	v_cndmask_b32_e64 v7, v11, v7, s0
	v_cmp_ne_u32_e64 s0, 0, v12
	v_lshrrev_b32_e32 v12, 8, v22
	v_med3_i32 v30, v30, 0, 13
	v_and_b32_e32 v21, 7, v7
	v_cndmask_b32_e64 v11, 0, 1, s0
	v_cmp_gt_i32_e64 s0, 31, v25
	v_mul_f64 v[27:28], v[27:28], s[4:5]
	v_lshrrev_b32_e32 v7, 2, v7
	v_cmp_eq_u32_e64 s1, 3, v21
	v_and_or_b32 v11, 0xffe, v12, v11
	v_cndmask_b32_e64 v2, 0x7c00, v2, s0
	v_cmp_lt_i32_e64 s0, 5, v21
	ds_read2_b32 v[12:13], v73 offset0:104 offset1:159
	v_lshrrev_b32_e32 v25, 16, v20
	v_or_b32_e32 v31, 0x1000, v11
	v_cndmask_b32_e64 v2, v2, v29, s2
	s_or_b32 s0, s1, s0
	v_add_co_ci_u32_e64 v7, s0, 0, v7, s0
	v_lshrrev_b32_e32 v21, v30, v31
	v_cmp_ne_u32_e64 s0, 0, v4
	v_and_or_b32 v0, 0x8000, v25, v2
	v_lshlrev_b32_e32 v20, v30, v21
	v_cndmask_b32_e64 v4, 0, 1, s0
	v_cmp_gt_i32_e64 s0, 31, v15
	v_add_nc_u32_e32 v30, 0xfffffc10, v19
	v_and_or_b32 v19, 0x1ff, v28, v27
	v_and_b32_e32 v0, 0xffff, v0
	v_lshl_or_b32 v4, v4, 9, 0x7c00
	v_cndmask_b32_e64 v7, 0x7c00, v7, s0
	v_cmp_ne_u32_e64 s0, v20, v31
	s_waitcnt lgkmcnt(0)
	v_lshrrev_b32_e32 v29, 16, v12
	v_cndmask_b32_e64 v20, 0, 1, s0
	v_cmp_eq_u32_e64 s0, 0x40f, v15
	v_mul_f16_sdwa v27, v110, v29 dst_sel:DWORD dst_unused:UNUSED_PAD src0_sel:WORD_1 src1_sel:DWORD
	v_lshl_or_b32 v15, v30, 12, v11
	v_cndmask_b32_e64 v4, v7, v4, s0
	v_cmp_ne_u32_e64 s0, 0, v19
	v_or_b32_e32 v7, v21, v20
	v_lshrrev_b32_e32 v20, 8, v28
	v_bfe_u32 v21, v28, 20, 11
	v_fmac_f16_e32 v27, v110, v12
	v_cndmask_b32_e64 v19, 0, 1, s0
	v_cmp_gt_i32_e64 s0, 1, v30
	v_and_or_b32 v2, 0x8000, v26, v4
	v_sub_nc_u32_e32 v31, 0x3f1, v21
	v_cvt_f32_f16_e32 v27, v27
	v_mul_f16_sdwa v12, v110, v12 dst_sel:DWORD dst_unused:UNUSED_PAD src0_sel:WORD_1 src1_sel:DWORD
	v_cndmask_b32_e64 v7, v15, v7, s0
	v_and_or_b32 v15, 0xffe, v20, v19
	v_med3_i32 v31, v31, 0, 13
	v_cvt_f64_f32_e32 v[19:20], v27
	v_fma_f16 v12, v110, v29, -v12
	v_and_b32_e32 v27, 7, v7
	v_or_b32_e32 v32, 0x1000, v15
	v_lshrrev_b32_e32 v7, 2, v7
	v_add_nc_u32_e32 v29, 0xfffffc10, v21
	v_cvt_f32_f16_e32 v12, v12
	v_cmp_lt_i32_e64 s0, 5, v27
	v_lshrrev_b32_e32 v4, v31, v32
	v_cmp_eq_u32_e64 s1, 3, v27
	v_lshl_or_b32 v0, v2, 16, v0
	v_lshlrev_b32_e32 v25, v31, v4
	s_or_b32 s0, s1, s0
	v_add_co_ci_u32_e64 v7, s0, 0, v7, s0
	v_cmp_ne_u32_e64 s0, v25, v32
	v_cvt_f64_f32_e32 v[25:26], v12
	v_lshl_or_b32 v12, v29, 12, v15
	v_mul_f64 v[19:20], v[19:20], s[4:5]
	v_cndmask_b32_e64 v27, 0, 1, s0
	v_cmp_ne_u32_e64 s0, 0, v11
	v_or_b32_e32 v4, v4, v27
	v_cndmask_b32_e64 v11, 0, 1, s0
	v_cmp_gt_i32_e64 s0, 31, v30
	v_lshl_or_b32 v11, v11, 9, 0x7c00
	v_cndmask_b32_e64 v7, 0x7c00, v7, s0
	v_cmp_gt_i32_e64 s0, 1, v29
	v_cndmask_b32_e64 v4, v12, v4, s0
	v_cmp_eq_u32_e64 s0, 0x40f, v30
	v_and_b32_e32 v27, 7, v4
	v_cndmask_b32_e64 v2, v7, v11, s0
	v_lshrrev_b32_e32 v7, 16, v22
	ds_read2_b32 v[11:12], v69 offset0:101 offset1:156
	v_add_co_u32 v21, s0, v23, s10
	v_add_co_ci_u32_e64 v22, s0, s11, v24, s0
	v_and_or_b32 v2, 0x8000, v7, v2
	v_and_or_b32 v7, 0x1ff, v20, v19
	v_mul_f64 v[23:24], v[25:26], s[4:5]
	v_cmp_lt_i32_e64 s0, 5, v27
	v_cmp_eq_u32_e64 s1, 3, v27
	v_lshrrev_b32_e32 v4, 2, v4
	v_cmp_ne_u32_e64 s2, 0, v7
	v_lshrrev_b32_e32 v19, 8, v20
	v_bfe_u32 v27, v20, 20, 11
	s_or_b32 s0, s1, s0
	v_and_b32_e32 v2, 0xffff, v2
	v_cndmask_b32_e64 v7, 0, 1, s2
	v_add_co_ci_u32_e64 v4, s0, 0, v4, s0
	v_cmp_ne_u32_e64 s0, 0, v15
	s_waitcnt lgkmcnt(0)
	v_lshrrev_b32_e32 v30, 16, v11
	v_and_or_b32 v7, 0xffe, v19, v7
	v_sub_nc_u32_e32 v19, 0x3f1, v27
	global_store_dword v[21:22], v0, off
	v_cndmask_b32_e64 v15, 0, 1, s0
	v_mul_f16_sdwa v25, v109, v30 dst_sel:DWORD dst_unused:UNUSED_PAD src0_sel:WORD_1 src1_sel:DWORD
	v_or_b32_e32 v31, 0x1000, v7
	v_med3_i32 v19, v19, 0, 13
	v_cmp_gt_i32_e64 s0, 31, v29
	v_lshl_or_b32 v15, v15, 9, 0x7c00
	v_fmac_f16_e32 v25, v109, v11
	v_and_or_b32 v23, 0x1ff, v24, v23
	v_lshrrev_b32_e32 v32, v19, v31
	v_cndmask_b32_e64 v4, 0x7c00, v4, s0
	v_cmp_eq_u32_e64 s0, 0x40f, v29
	v_lshrrev_b32_e32 v29, 8, v24
	v_bfe_u32 v33, v24, 20, 11
	v_mul_f16_sdwa v11, v109, v11 dst_sel:DWORD dst_unused:UNUSED_PAD src0_sel:WORD_1 src1_sel:DWORD
	v_lshrrev_b32_e32 v24, 16, v24
	v_cndmask_b32_e64 v4, v4, v15, s0
	v_lshlrev_b32_e32 v15, v19, v32
	v_cvt_f32_f16_e32 v19, v25
	v_cmp_ne_u32_e64 s0, 0, v23
	v_fma_f16 v11, v109, v30, -v11
	v_cvt_f64_f32_e32 v[25:26], v19
	v_cndmask_b32_e64 v23, 0, 1, s0
	v_cmp_ne_u32_e64 s0, v15, v31
	v_add_nc_u32_e32 v19, 0xfffffc10, v27
	v_lshrrev_b32_e32 v27, 16, v28
	v_sub_nc_u32_e32 v28, 0x3f1, v33
	v_and_or_b32 v23, 0xffe, v29, v23
	v_cndmask_b32_e64 v15, 0, 1, s0
	v_lshl_or_b32 v29, v19, 12, v7
	v_cmp_gt_i32_e64 s0, 1, v19
	v_and_or_b32 v4, 0x8000, v27, v4
	v_or_b32_e32 v27, 0x1000, v23
	v_or_b32_e32 v15, v32, v15
	v_med3_i32 v28, v28, 0, 13
	v_cvt_f32_f16_e32 v11, v11
	v_lshl_or_b32 v2, v4, 16, v2
	v_cndmask_b32_e64 v15, v29, v15, s0
	v_lshrrev_b32_e32 v29, v28, v27
	v_and_b32_e32 v0, 7, v15
	v_mul_f64 v[25:26], v[25:26], s[4:5]
	v_lshlrev_b32_e32 v4, v28, v29
	v_cmp_lt_i32_e64 s0, 5, v0
	v_cmp_eq_u32_e64 s1, 3, v0
	v_cmp_ne_u32_e64 s2, v4, v27
	v_cvt_f64_f32_e32 v[27:28], v11
	v_lshrrev_b32_e32 v11, 2, v15
	v_add_nc_u32_e32 v4, 0xfffffc10, v33
	s_or_b32 s0, s1, s0
	v_cndmask_b32_e64 v0, 0, 1, s2
	v_add_co_u32 v21, s2, v21, s10
	v_add_co_ci_u32_e64 v11, s0, 0, v11, s0
	v_cmp_ne_u32_e64 s0, 0, v7
	v_or_b32_e32 v0, v29, v0
	v_lshl_or_b32 v15, v4, 12, v23
	v_add_co_ci_u32_e64 v22, s2, s11, v22, s2
	v_cndmask_b32_e64 v7, 0, 1, s0
	v_cmp_gt_i32_e64 s0, 1, v4
	v_lshrrev_b32_e32 v30, 8, v26
	v_bfe_u32 v31, v26, 20, 11
	global_store_dword v[21:22], v2, off
	v_lshl_or_b32 v7, v7, 9, 0x7c00
	v_cndmask_b32_e64 v0, v15, v0, s0
	v_and_or_b32 v15, 0x1ff, v26, v25
	v_cmp_gt_i32_e64 s0, 31, v19
	v_mul_f64 v[27:28], v[27:28], s[4:5]
	v_and_b32_e32 v25, 7, v0
	v_lshrrev_b32_e32 v0, 2, v0
	v_cndmask_b32_e64 v11, 0x7c00, v11, s0
	v_cmp_ne_u32_e64 s0, 0, v15
	ds_read2_b32 v[14:15], v14 offset0:98 offset1:153
	v_cmp_eq_u32_e64 s1, 3, v25
	v_cndmask_b32_e64 v29, 0, 1, s0
	v_cmp_eq_u32_e64 s0, 0x40f, v19
	v_sub_nc_u32_e32 v19, 0x3f1, v31
	v_add_nc_u32_e32 v31, 0xfffffc10, v31
	v_and_or_b32 v29, 0xffe, v30, v29
	v_cndmask_b32_e64 v7, v11, v7, s0
	v_cmp_lt_i32_e64 s0, 5, v25
	v_lshrrev_b32_e32 v11, 16, v20
	v_med3_i32 v19, v19, 0, 13
	s_or_b32 s0, s1, s0
	v_and_or_b32 v7, 0x8000, v11, v7
	v_add_co_ci_u32_e64 v0, s0, 0, v0, s0
	v_or_b32_e32 v11, 0x1000, v29
	v_cmp_ne_u32_e64 s0, 0, v23
	s_waitcnt lgkmcnt(0)
	v_lshrrev_b32_e32 v25, 16, v14
	v_and_or_b32 v27, 0x1ff, v28, v27
	v_and_b32_e32 v7, 0xffff, v7
	v_lshrrev_b32_e32 v23, v19, v11
	v_cndmask_b32_e64 v20, 0, 1, s0
	v_cmp_gt_i32_e64 s0, 31, v4
	v_mul_f16_sdwa v30, v108, v25 dst_sel:DWORD dst_unused:UNUSED_PAD src0_sel:WORD_1 src1_sel:DWORD
	v_lshlrev_b32_e32 v19, v19, v23
	v_lshl_or_b32 v20, v20, 9, 0x7c00
	v_cndmask_b32_e64 v0, 0x7c00, v0, s0
	v_cmp_eq_u32_e64 s0, 0x40f, v4
	v_fmac_f16_e32 v30, v108, v14
	v_mul_f16_sdwa v14, v108, v14 dst_sel:DWORD dst_unused:UNUSED_PAD src0_sel:WORD_1 src1_sel:DWORD
	v_cndmask_b32_e64 v0, v0, v20, s0
	v_cmp_ne_u32_e64 s0, v19, v11
	v_lshrrev_b32_e32 v19, 8, v28
	v_cvt_f32_f16_e32 v20, v30
	v_lshl_or_b32 v30, v31, 12, v29
	v_and_or_b32 v0, 0x8000, v24, v0
	v_cndmask_b32_e64 v4, 0, 1, s0
	v_cmp_ne_u32_e64 s0, 0, v27
	v_bfe_u32 v27, v28, 20, 11
	v_fma_f16 v2, v108, v25, -v14
	v_lshl_or_b32 v0, v0, 16, v7
	v_or_b32_e32 v4, v23, v4
	v_cndmask_b32_e64 v11, 0, 1, s0
	v_cmp_gt_i32_e64 s0, 1, v31
	v_sub_nc_u32_e32 v23, 0x3f1, v27
	v_cvt_f32_f16_e32 v2, v2
	v_add_nc_u32_e32 v14, 0xfffffc10, v27
	v_and_or_b32 v11, 0xffe, v19, v11
	v_cvt_f64_f32_e32 v[19:20], v20
	v_cndmask_b32_e64 v4, v30, v4, s0
	v_med3_i32 v23, v23, 0, 13
	v_lshrrev_b32_e32 v28, 16, v28
	v_or_b32_e32 v32, 0x1000, v11
	v_lshl_or_b32 v25, v14, 12, v11
	v_and_b32_e32 v24, 7, v4
	v_lshrrev_b32_e32 v4, 2, v4
	v_lshrrev_b32_e32 v30, v23, v32
	v_cmp_lt_i32_e64 s0, 5, v24
	v_cmp_eq_u32_e64 s1, 3, v24
	v_lshlrev_b32_e32 v7, v23, v30
	v_cvt_f64_f32_e32 v[23:24], v2
	s_or_b32 s0, s1, s0
	v_add_co_ci_u32_e64 v2, s0, 0, v4, s0
	v_cmp_ne_u32_e64 s2, v7, v32
	v_cmp_ne_u32_e64 s0, 0, v29
	v_mul_f64 v[19:20], v[19:20], s[4:5]
	v_lshrrev_b32_e32 v29, 16, v16
	v_cndmask_b32_e64 v7, 0, 1, s2
	v_cndmask_b32_e64 v4, 0, 1, s0
	v_cmp_gt_i32_e64 s0, 31, v31
	v_or_b32_e32 v7, v30, v7
	v_lshl_or_b32 v4, v4, 9, 0x7c00
	v_cndmask_b32_e64 v2, 0x7c00, v2, s0
	v_cmp_gt_i32_e64 s0, 1, v14
	v_mul_f64 v[23:24], v[23:24], s[4:5]
	v_cndmask_b32_e64 v7, v25, v7, s0
	v_add_co_u32 v21, s0, v21, s10
	v_add_co_ci_u32_e64 v22, s0, s11, v22, s0
	v_and_b32_e32 v25, 7, v7
	v_cmp_eq_u32_e64 s0, 0x40f, v31
	v_and_or_b32 v19, 0x1ff, v20, v19
	v_lshrrev_b32_e32 v7, 2, v7
	v_bfe_u32 v27, v20, 20, 11
	v_cmp_eq_u32_e64 s1, 3, v25
	v_cndmask_b32_e64 v2, v2, v4, s0
	v_cmp_lt_i32_e64 s0, 5, v25
	v_cmp_ne_u32_e64 s2, 0, v19
	v_lshrrev_b32_e32 v25, 8, v20
	v_lshrrev_b32_e32 v4, 16, v26
	v_mul_f16_sdwa v26, v107, v29 dst_sel:DWORD dst_unused:UNUSED_PAD src0_sel:WORD_1 src1_sel:DWORD
	s_or_b32 s0, s1, s0
	v_cndmask_b32_e64 v19, 0, 1, s2
	v_add_co_ci_u32_e64 v7, s0, 0, v7, s0
	v_cmp_ne_u32_e64 s0, 0, v11
	v_and_or_b32 v23, 0x1ff, v24, v23
	v_and_or_b32 v19, 0xffe, v25, v19
	v_sub_nc_u32_e32 v25, 0x3f1, v27
	v_fmac_f16_e32 v26, v107, v16
	v_cndmask_b32_e64 v11, 0, 1, s0
	v_cmp_gt_i32_e64 s0, 31, v14
	v_or_b32_e32 v30, 0x1000, v19
	v_med3_i32 v25, v25, 0, 13
	v_cvt_f32_f16_e32 v26, v26
	v_lshl_or_b32 v11, v11, 9, 0x7c00
	v_cndmask_b32_e64 v7, 0x7c00, v7, s0
	v_cmp_eq_u32_e64 s0, 0x40f, v14
	v_bfe_u32 v31, v24, 20, 11
	v_mul_f16_sdwa v16, v107, v16 dst_sel:DWORD dst_unused:UNUSED_PAD src0_sel:WORD_1 src1_sel:DWORD
	v_and_or_b32 v2, 0x8000, v4, v2
	global_store_dword v[21:22], v0, off
	v_cndmask_b32_e64 v7, v7, v11, s0
	v_lshrrev_b32_e32 v11, v25, v30
	v_cmp_ne_u32_e64 s0, 0, v23
	v_lshrrev_b32_e32 v23, 8, v24
	v_fma_f16 v0, v107, v29, -v16
	v_and_or_b32 v4, 0x8000, v28, v7
	v_lshlrev_b32_e32 v32, v25, v11
	v_cndmask_b32_e64 v14, 0, 1, s0
	v_cvt_f64_f32_e32 v[25:26], v26
	v_cvt_f32_f16_e32 v0, v0
	v_and_b32_e32 v2, 0xffff, v2
	v_cmp_ne_u32_e64 s0, v32, v30
	v_and_or_b32 v14, 0xffe, v23, v14
	v_sub_nc_u32_e32 v23, 0x3f1, v31
	v_add_nc_u32_e32 v32, 0xfffffc10, v27
	v_lshl_or_b32 v2, v4, 16, v2
	v_cndmask_b32_e64 v30, 0, 1, s0
	v_or_b32_e32 v27, 0x1000, v14
	v_med3_i32 v23, v23, 0, 13
	v_cmp_gt_i32_e64 s0, 1, v32
	v_add_nc_u32_e32 v16, 0xfffffc10, v31
	v_or_b32_e32 v7, v11, v30
	v_lshl_or_b32 v11, v32, 12, v19
	v_lshrrev_b32_e32 v30, v23, v27
	v_add_co_u32 v21, s2, v21, s10
	v_add_co_ci_u32_e64 v22, s2, s11, v22, s2
	v_cndmask_b32_e64 v7, v11, v7, s0
	v_lshlrev_b32_e32 v11, v23, v30
	v_mul_f64 v[25:26], v[25:26], s[4:5]
	v_cmp_gt_i32_e64 s2, 1, v16
	global_store_dword v[21:22], v2, off
	v_and_b32_e32 v4, 7, v7
	v_cmp_ne_u32_e64 s0, v11, v27
	v_cvt_f64_f32_e32 v[27:28], v0
	v_lshrrev_b32_e32 v7, 2, v7
	v_lshrrev_b32_e32 v24, 16, v24
	v_cmp_eq_u32_e64 s1, 3, v4
	v_cndmask_b32_e64 v11, 0, 1, s0
	v_cmp_lt_i32_e64 s0, 5, v4
	v_lshl_or_b32 v4, v16, 12, v14
	v_or_b32_e32 v0, v30, v11
	s_or_b32 s0, s1, s0
	v_cndmask_b32_e64 v0, v4, v0, s2
	v_add_co_ci_u32_e64 v4, s0, 0, v7, s0
	v_cmp_ne_u32_e64 s0, 0, v19
	v_and_or_b32 v19, 0x1ff, v26, v25
	v_and_b32_e32 v11, 7, v0
	v_lshrrev_b32_e32 v0, 2, v0
	v_bfe_u32 v23, v26, 20, 11
	v_cndmask_b32_e64 v7, 0, 1, s0
	v_cmp_gt_i32_e64 s0, 31, v32
	v_mul_f64 v[27:28], v[27:28], s[4:5]
	v_cmp_ne_u32_e64 s2, 0, v19
	v_cmp_eq_u32_e64 s1, 3, v11
	v_lshl_or_b32 v7, v7, 9, 0x7c00
	v_cndmask_b32_e64 v4, 0x7c00, v4, s0
	v_cmp_lt_i32_e64 s0, 5, v11
	v_cndmask_b32_e64 v11, 0, 1, s2
	v_lshrrev_b32_e32 v19, 8, v26
	v_cmp_eq_u32_e64 s2, 0x40f, v32
	v_lshrrev_b32_e32 v25, 16, v20
	s_or_b32 s0, s1, s0
	v_add_co_ci_u32_e64 v0, s0, 0, v0, s0
	v_cndmask_b32_e64 v4, v4, v7, s2
	v_and_or_b32 v11, 0xffe, v19, v11
	v_sub_nc_u32_e32 v7, 0x3f1, v23
	v_cmp_ne_u32_e64 s0, 0, v14
	v_add_nc_u32_e32 v23, 0xfffffc10, v23
	v_and_or_b32 v4, 0x8000, v25, v4
	v_or_b32_e32 v19, 0x1000, v11
	v_med3_i32 v7, v7, 0, 13
	v_cndmask_b32_e64 v14, 0, 1, s0
	v_cmp_gt_i32_e64 s0, 31, v16
	v_and_or_b32 v27, 0x1ff, v28, v27
	v_bfe_u32 v30, v28, 20, 11
	v_lshrrev_b32_e32 v20, v7, v19
	v_lshl_or_b32 v14, v14, 9, 0x7c00
	v_cndmask_b32_e64 v0, 0x7c00, v0, s0
	v_cmp_eq_u32_e64 s0, 0x40f, v16
	v_and_b32_e32 v2, 0xffff, v4
	v_lshlrev_b32_e32 v7, v7, v20
	v_cndmask_b32_e64 v0, v0, v14, s0
	v_cmp_ne_u32_e64 s0, 0, v27
	v_lshrrev_b32_e32 v14, 16, v6
	v_lshrrev_b32_e32 v27, 8, v28
	v_and_or_b32 v0, 0x8000, v24, v0
	v_cndmask_b32_e64 v16, 0, 1, s0
	v_cmp_ne_u32_e64 s0, v7, v19
	v_mul_f16_sdwa v29, v106, v14 dst_sel:DWORD dst_unused:UNUSED_PAD src0_sel:WORD_1 src1_sel:DWORD
	v_sub_nc_u32_e32 v19, 0x3f1, v30
	v_add_nc_u32_e32 v24, 0xfffffc10, v30
	v_and_or_b32 v16, 0xffe, v27, v16
	v_cndmask_b32_e64 v7, 0, 1, s0
	v_fmac_f16_e32 v29, v106, v6
	v_cmp_gt_i32_e64 s0, 1, v23
	v_med3_i32 v31, v19, 0, 13
	v_mul_f16_sdwa v6, v106, v6 dst_sel:DWORD dst_unused:UNUSED_PAD src0_sel:WORD_1 src1_sel:DWORD
	v_or_b32_e32 v7, v20, v7
	v_lshl_or_b32 v20, v23, 12, v11
	v_cvt_f32_f16_e32 v27, v29
	v_or_b32_e32 v29, 0x1000, v16
	v_fma_f16 v14, v106, v14, -v6
	v_lshl_or_b32 v0, v0, 16, v2
	v_cndmask_b32_e64 v7, v20, v7, s0
	v_cvt_f64_f32_e32 v[19:20], v27
	v_lshrrev_b32_e32 v25, v31, v29
	v_cvt_f32_f16_e32 v14, v14
	v_mul_f16_sdwa v30, v104, v3 dst_sel:DWORD dst_unused:UNUSED_PAD src0_sel:WORD_1 src1_sel:DWORD
	v_and_b32_e32 v27, 7, v7
	v_lshrrev_b32_e32 v7, 2, v7
	v_lshlrev_b32_e32 v4, v31, v25
	v_cmp_lt_i32_e64 s0, 5, v27
	v_cmp_eq_u32_e64 s1, 3, v27
	v_cmp_ne_u32_e64 s2, v4, v29
	s_or_b32 s0, s1, s0
	v_cndmask_b32_e64 v4, 0, 1, s2
	v_add_co_ci_u32_e64 v27, s0, 0, v7, s0
	v_cmp_ne_u32_e64 s0, 0, v11
	v_cmp_eq_u32_e64 s2, 0x40f, v23
	v_or_b32_e32 v4, v25, v4
	v_lshl_or_b32 v25, v24, 12, v16
	v_mul_f64 v[6:7], v[19:20], s[4:5]
	v_cndmask_b32_e64 v11, 0, 1, s0
	v_cmp_gt_i32_e64 s0, 1, v24
	v_cvt_f64_f32_e32 v[19:20], v14
	v_lshl_or_b32 v11, v11, 9, 0x7c00
	v_cndmask_b32_e64 v4, v25, v4, s0
	v_cmp_gt_i32_e64 s0, 31, v23
	v_and_b32_e32 v14, 7, v4
	v_cndmask_b32_e64 v2, 0x7c00, v27, s0
	v_add_co_u32 v21, s0, v21, s10
	v_add_co_ci_u32_e64 v22, s0, s11, v22, s0
	v_cmp_lt_i32_e64 s0, 5, v14
	v_cmp_eq_u32_e64 s1, 3, v14
	v_lshrrev_b32_e32 v4, 2, v4
	v_cndmask_b32_e64 v2, v2, v11, s2
	v_and_or_b32 v6, 0x1ff, v7, v6
	v_lshrrev_b32_e32 v11, 16, v26
	s_or_b32 s0, s1, s0
	v_mul_f64 v[19:20], v[19:20], s[4:5]
	v_add_co_ci_u32_e64 v4, s0, 0, v4, s0
	v_cmp_ne_u32_e64 s0, 0, v16
	v_lshrrev_b32_e32 v16, 8, v7
	v_bfe_u32 v25, v7, 20, 11
	v_lshrrev_b32_e32 v26, 16, v1
	global_store_dword v[21:22], v0, off
	v_cndmask_b32_e64 v14, 0, 1, s0
	v_cmp_ne_u32_e64 s0, 0, v6
	v_sub_nc_u32_e32 v23, 0x3f1, v25
	v_and_or_b32 v0, 0x8000, v11, v2
	v_add_nc_u32_e32 v25, 0xfffffc10, v25
	v_lshl_or_b32 v14, v14, 9, 0x7c00
	v_cndmask_b32_e64 v6, 0, 1, s0
	v_cmp_gt_i32_e64 s0, 31, v24
	s_mul_hi_u32 s2, s8, 0xfffffb55
	s_mul_i32 s1, s9, 0xfffffb55
	v_lshrrev_b32_e32 v7, 16, v7
	v_and_or_b32 v6, 0xffe, v16, v6
	v_cndmask_b32_e64 v4, 0x7c00, v4, s0
	v_mul_f16_sdwa v16, v105, v26 dst_sel:DWORD dst_unused:UNUSED_PAD src0_sel:WORD_1 src1_sel:DWORD
	v_cmp_eq_u32_e64 s0, 0x40f, v24
	v_or_b32_e32 v27, 0x1000, v6
	v_fmac_f16_e32 v16, v105, v1
	v_cndmask_b32_e64 v4, v4, v14, s0
	v_lshrrev_b32_e32 v14, 16, v28
	v_med3_i32 v28, v23, 0, 13
	v_cvt_f32_f16_e32 v2, v16
	v_lshrrev_b32_e32 v16, 8, v20
	v_and_or_b32 v4, 0x8000, v14, v4
	v_lshrrev_b32_e32 v11, v28, v27
	v_and_or_b32 v14, 0x1ff, v20, v19
	v_cvt_f64_f32_e32 v[23:24], v2
	v_bfe_u32 v19, v20, 20, 11
	v_lshrrev_b32_e32 v20, 16, v20
	v_lshlrev_b32_e32 v2, v28, v11
	v_cmp_ne_u32_e64 s0, 0, v14
	v_mul_f16_sdwa v28, v105, v1 dst_sel:DWORD dst_unused:UNUSED_PAD src0_sel:WORD_1 src1_sel:DWORD
	v_cndmask_b32_e64 v14, 0, 1, s0
	v_cmp_ne_u32_e64 s0, v2, v27
	v_and_or_b32 v14, 0xffe, v16, v14
	v_cndmask_b32_e64 v2, 0, 1, s0
	s_sub_i32 s0, s2, s8
	v_sub_nc_u32_e32 v16, 0x3f1, v19
	s_add_i32 s13, s0, s1
	v_cmp_gt_i32_e64 s0, 1, v25
	v_or_b32_e32 v2, v11, v2
	v_lshl_or_b32 v11, v25, 12, v6
	v_or_b32_e32 v27, 0x1000, v14
	v_med3_i32 v16, v16, 0, 13
	v_add_nc_u32_e32 v19, 0xfffffc10, v19
	s_lshl_b64 s[12:13], s[12:13], 2
	v_cndmask_b32_e64 v2, v11, v2, s0
	v_and_b32_e32 v11, 0xffff, v0
	v_mul_f64 v[0:1], v[23:24], s[4:5]
	v_lshrrev_b32_e32 v29, v16, v27
	v_fma_f16 v24, v105, v26, -v28
	v_and_b32_e32 v23, 7, v2
	v_lshrrev_b32_e32 v2, 2, v2
	v_lshl_or_b32 v11, v4, 16, v11
	v_lshlrev_b32_e32 v4, v16, v29
	v_cvt_f32_f16_e32 v16, v24
	v_cmp_lt_i32_e64 s0, 5, v23
	v_cmp_eq_u32_e64 s1, 3, v23
	v_lshrrev_b32_e32 v26, 16, v3
	v_cmp_ne_u32_e64 s2, v4, v27
	v_cvt_f64_f32_e32 v[23:24], v16
	v_lshl_or_b32 v16, v19, 12, v14
	s_or_b32 s0, s1, s0
	v_mul_f16_sdwa v27, v104, v26 dst_sel:DWORD dst_unused:UNUSED_PAD src0_sel:WORD_1 src1_sel:DWORD
	v_add_co_ci_u32_e64 v2, s0, 0, v2, s0
	v_cmp_ne_u32_e64 s0, 0, v6
	v_cndmask_b32_e64 v4, 0, 1, s2
	v_fmac_f16_e32 v27, v104, v3
	v_and_or_b32 v0, 0x1ff, v1, v0
	v_cndmask_b32_e64 v6, 0, 1, s0
	v_cmp_gt_i32_e64 s0, 31, v25
	v_or_b32_e32 v4, v29, v4
	v_lshl_or_b32 v6, v6, 9, 0x7c00
	v_cndmask_b32_e64 v2, 0x7c00, v2, s0
	v_cmp_gt_i32_e64 s0, 1, v19
	v_mul_f64 v[23:24], v[23:24], s[4:5]
	v_cndmask_b32_e64 v4, v16, v4, s0
	v_cmp_ne_u32_e64 s0, 0, v0
	v_lshrrev_b32_e32 v16, 8, v1
	v_cndmask_b32_e64 v0, 0, 1, s0
	v_cmp_eq_u32_e64 s0, 0x40f, v25
	v_bfe_u32 v25, v1, 20, 11
	v_and_or_b32 v0, 0xffe, v16, v0
	v_cndmask_b32_e64 v2, v2, v6, s0
	v_and_b32_e32 v6, 7, v4
	v_sub_nc_u32_e32 v16, 0x3f1, v25
	v_lshrrev_b32_e32 v4, 2, v4
	v_or_b32_e32 v28, 0x1000, v0
	v_and_or_b32 v2, 0x8000, v7, v2
	v_cmp_lt_i32_e64 s0, 5, v6
	v_cmp_eq_u32_e64 s1, 3, v6
	v_med3_i32 v16, v16, 0, 13
	v_cvt_f32_f16_e32 v6, v27
	v_and_or_b32 v23, 0x1ff, v24, v23
	v_add_nc_u32_e32 v25, 0xfffffc10, v25
	s_or_b32 s0, s1, s0
	v_lshrrev_b32_e32 v29, v16, v28
	v_add_co_ci_u32_e64 v4, s0, 0, v4, s0
	v_cmp_ne_u32_e64 s0, 0, v14
	v_cvt_f64_f32_e32 v[6:7], v6
	v_lshlrev_b32_e32 v16, v16, v29
	v_lshrrev_b32_e32 v27, 8, v24
	v_cndmask_b32_e64 v14, 0, 1, s0
	v_cmp_gt_i32_e64 s0, 31, v19
	v_lshl_or_b32 v14, v14, 9, 0x7c00
	v_cndmask_b32_e64 v4, 0x7c00, v4, s0
	v_cmp_ne_u32_e64 s0, v16, v28
	v_bfe_u32 v28, v24, 20, 11
	v_cndmask_b32_e64 v16, 0, 1, s0
	v_cmp_ne_u32_e64 s0, 0, v23
	v_cndmask_b32_e64 v23, 0, 1, s0
	v_cmp_eq_u32_e64 s0, 0x40f, v19
	v_mul_f64 v[6:7], v[6:7], s[4:5]
	v_sub_nc_u32_e32 v19, 0x3f1, v28
	v_and_or_b32 v23, 0xffe, v27, v23
	v_cndmask_b32_e64 v4, v4, v14, s0
	v_or_b32_e32 v14, v29, v16
	v_lshl_or_b32 v16, v25, 12, v0
	v_cmp_gt_i32_e64 s0, 1, v25
	v_med3_i32 v19, v19, 0, 13
	v_and_or_b32 v4, 0x8000, v20, v4
	v_and_b32_e32 v20, 0xffff, v2
	v_cndmask_b32_e64 v14, v16, v14, s0
	v_or_b32_e32 v16, 0x1000, v23
	v_add_co_u32 v2, s0, v21, s12
	v_fma_f16 v21, v104, v26, -v30
	v_and_b32_e32 v27, 7, v14
	v_lshrrev_b32_e32 v29, v19, v16
	v_add_co_ci_u32_e64 v3, s0, s13, v22, s0
	v_lshl_or_b32 v26, v4, 16, v20
	v_cmp_lt_i32_e64 s0, 5, v27
	v_lshlrev_b32_e32 v4, v19, v29
	v_cvt_f32_f16_e32 v19, v21
	v_cmp_eq_u32_e64 s1, 3, v27
	v_lshrrev_b32_e32 v14, 2, v14
	v_and_or_b32 v6, 0x1ff, v7, v6
	v_cmp_ne_u32_e64 s2, v4, v16
	v_cvt_f64_f32_e32 v[19:20], v19
	s_or_b32 s0, s1, s0
	v_add_nc_u32_e32 v16, 0xfffffc10, v28
	v_add_co_ci_u32_e64 v14, s0, 0, v14, s0
	v_cmp_ne_u32_e64 s0, 0, v6
	v_cndmask_b32_e64 v4, 0, 1, s2
	v_lshl_or_b32 v21, v16, 12, v23
	v_lshrrev_b32_e32 v22, 8, v7
	v_bfe_u32 v27, v7, 20, 11
	v_cndmask_b32_e64 v6, 0, 1, s0
	v_cmp_ne_u32_e64 s0, 0, v0
	v_or_b32_e32 v4, v29, v4
	global_store_dword v[2:3], v11, off
	v_lshrrev_b32_e32 v7, 16, v7
	v_and_or_b32 v6, 0xffe, v22, v6
	v_cndmask_b32_e64 v0, 0, 1, s0
	v_cmp_gt_i32_e64 s0, 1, v16
	v_or_b32_e32 v28, 0x1000, v6
	v_lshl_or_b32 v0, v0, 9, 0x7c00
	v_cndmask_b32_e64 v4, v21, v4, s0
	v_cmp_gt_i32_e64 s0, 31, v25
	v_sub_nc_u32_e32 v21, 0x3f1, v27
	v_mul_f64 v[19:20], v[19:20], s[4:5]
	v_add_nc_u32_e32 v27, 0xfffffc10, v27
	v_and_b32_e32 v22, 7, v4
	v_cndmask_b32_e64 v14, 0x7c00, v14, s0
	v_med3_i32 v21, v21, 0, 13
	v_cmp_eq_u32_e64 s0, 0x40f, v25
	v_lshrrev_b32_e32 v4, 2, v4
	v_cmp_eq_u32_e64 s1, 3, v22
	v_lshrrev_b32_e32 v25, 16, v1
	v_cndmask_b32_e64 v14, v14, v0, s0
	v_cmp_lt_i32_e64 s0, 5, v22
	v_lshrrev_b32_e32 v22, v21, v28
	v_add_co_u32 v0, s2, v2, s10
	v_and_or_b32 v14, 0x8000, v25, v14
	s_or_b32 s0, s1, s0
	v_lshlrev_b32_e32 v21, v21, v22
	v_add_co_ci_u32_e64 v4, s0, 0, v4, s0
	v_lshrrev_b32_e32 v25, 16, v5
	v_add_co_ci_u32_e64 v1, s2, s11, v3, s2
	v_cmp_ne_u32_e64 s0, v21, v28
	v_and_or_b32 v19, 0x1ff, v20, v19
	v_mul_f16_sdwa v28, v103, v25 dst_sel:DWORD dst_unused:UNUSED_PAD src0_sel:WORD_1 src1_sel:DWORD
	v_lshrrev_b32_e32 v29, 8, v20
	v_bfe_u32 v30, v20, 20, 11
	v_cndmask_b32_e64 v21, 0, 1, s0
	v_cmp_ne_u32_e64 s0, 0, v23
	v_fmac_f16_e32 v28, v103, v5
	v_mul_f16_sdwa v5, v103, v5 dst_sel:DWORD dst_unused:UNUSED_PAD src0_sel:WORD_1 src1_sel:DWORD
	v_and_b32_e32 v14, 0xffff, v14
	v_or_b32_e32 v21, v22, v21
	v_cndmask_b32_e64 v23, 0, 1, s0
	v_cmp_ne_u32_e64 s0, 0, v19
	v_lshl_or_b32 v22, v27, 12, v6
	v_cvt_f32_f16_e32 v28, v28
	v_fma_f16 v5, v103, v25, -v5
	v_lshl_or_b32 v23, v23, 9, 0x7c00
	v_cndmask_b32_e64 v19, 0, 1, s0
	v_cmp_gt_i32_e64 s0, 1, v27
	global_store_dword v[0:1], v26, off
	v_lshrrev_b32_e32 v20, 16, v20
	v_and_or_b32 v19, 0xffe, v29, v19
	v_cndmask_b32_e64 v31, v22, v21, s0
	v_cmp_gt_i32_e64 s0, 31, v16
	v_sub_nc_u32_e32 v29, 0x3f1, v30
	v_cvt_f64_f32_e32 v[21:22], v28
	v_or_b32_e32 v32, 0x1000, v19
	v_and_b32_e32 v28, 7, v31
	v_cndmask_b32_e64 v4, 0x7c00, v4, s0
	v_cmp_eq_u32_e64 s0, 0x40f, v16
	v_med3_i32 v29, v29, 0, 13
	v_lshrrev_b32_e32 v16, 16, v24
	v_cmp_eq_u32_e64 s1, 3, v28
	v_cndmask_b32_e64 v4, v4, v23, s0
	v_lshrrev_b32_e32 v23, v29, v32
	v_cmp_lt_i32_e64 s0, 5, v28
	v_cvt_f32_f16_e32 v28, v5
	v_and_or_b32 v16, 0x8000, v16, v4
	v_lshrrev_b32_e32 v4, 2, v31
	v_lshlrev_b32_e32 v24, v29, v23
	s_or_b32 s0, s1, s0
	v_add_nc_u32_e32 v29, 0xfffffc10, v30
	v_lshl_or_b32 v14, v16, 16, v14
	v_add_co_ci_u32_e64 v25, s0, 0, v4, s0
	v_cmp_ne_u32_e64 s0, v24, v32
	v_mul_f64 v[4:5], v[21:22], s[4:5]
	v_cvt_f64_f32_e32 v[21:22], v28
	v_cndmask_b32_e64 v24, 0, 1, s0
	v_cmp_ne_u32_e64 s0, 0, v6
	v_or_b32_e32 v23, v23, v24
	v_cndmask_b32_e64 v6, 0, 1, s0
	v_cmp_gt_i32_e64 s0, 31, v27
	v_lshl_or_b32 v24, v29, 12, v19
	v_lshl_or_b32 v6, v6, 9, 0x7c00
	v_cndmask_b32_e64 v25, 0x7c00, v25, s0
	v_cmp_gt_i32_e64 s0, 1, v29
	v_cndmask_b32_e64 v23, v24, v23, s0
	v_cmp_eq_u32_e64 s0, 0x40f, v27
	v_and_or_b32 v4, 0x1ff, v5, v4
	v_bfe_u32 v16, v5, 20, 11
	v_mul_f16_sdwa v27, v102, v10 dst_sel:DWORD dst_unused:UNUSED_PAD src0_sel:WORD_1 src1_sel:DWORD
	v_and_b32_e32 v2, 7, v23
	v_cndmask_b32_e64 v6, v25, v6, s0
	v_cmp_ne_u32_e64 s2, 0, v4
	v_cmp_lt_i32_e64 s0, 5, v2
	v_cmp_eq_u32_e64 s1, 3, v2
	v_mul_f64 v[2:3], v[21:22], s[4:5]
	v_and_or_b32 v11, 0x8000, v7, v6
	v_lshrrev_b32_e32 v6, 2, v23
	v_cndmask_b32_e64 v4, 0, 1, s2
	v_lshrrev_b32_e32 v7, 8, v5
	s_or_b32 s0, s1, s0
	v_lshrrev_b32_e32 v21, 16, v10
	v_add_co_ci_u32_e64 v6, s0, 0, v6, s0
	v_and_or_b32 v4, 0xffe, v7, v4
	v_sub_nc_u32_e32 v7, 0x3f1, v16
	v_cmp_ne_u32_e64 s0, 0, v19
	v_mul_f16_sdwa v23, v102, v21 dst_sel:DWORD dst_unused:UNUSED_PAD src0_sel:WORD_1 src1_sel:DWORD
	v_add_nc_u32_e32 v16, 0xfffffc10, v16
	v_or_b32_e32 v22, 0x1000, v4
	v_med3_i32 v7, v7, 0, 13
	v_cndmask_b32_e64 v19, 0, 1, s0
	v_cmp_gt_i32_e64 s0, 31, v29
	v_fmac_f16_e32 v23, v102, v10
	v_and_b32_e32 v11, 0xffff, v11
	v_lshrrev_b32_e32 v24, v7, v22
	v_lshl_or_b32 v19, v19, 9, 0x7c00
	v_cndmask_b32_e64 v6, 0x7c00, v6, s0
	v_and_or_b32 v2, 0x1ff, v3, v2
	v_cmp_eq_u32_e64 s0, 0x40f, v29
	v_lshlrev_b32_e32 v25, v7, v24
	v_bfe_u32 v26, v3, 20, 11
	v_fma_f16 v21, v102, v21, -v27
	v_cndmask_b32_e64 v19, v6, v19, s0
	v_cmp_ne_u32_e64 s0, 0, v2
	v_cvt_f32_f16_e32 v6, v23
	v_lshrrev_b32_e32 v23, 8, v3
	v_cvt_f32_f16_e32 v21, v21
	v_and_or_b32 v19, 0x8000, v20, v19
	v_cndmask_b32_e64 v2, 0, 1, s0
	v_cmp_ne_u32_e64 s0, v25, v22
	v_cvt_f64_f32_e32 v[6:7], v6
	v_and_or_b32 v2, 0xffe, v23, v2
	v_cndmask_b32_e64 v22, 0, 1, s0
	v_sub_nc_u32_e32 v23, 0x3f1, v26
	v_cmp_gt_i32_e64 s0, 1, v16
	v_or_b32_e32 v25, 0x1000, v2
	v_or_b32_e32 v22, v24, v22
	v_lshl_or_b32 v24, v16, 12, v4
	v_med3_i32 v23, v23, 0, 13
	v_cndmask_b32_e64 v20, v24, v22, s0
	v_lshrrev_b32_e32 v22, v23, v25
	v_add_co_u32 v0, s0, v0, s10
	v_add_co_ci_u32_e64 v1, s0, s11, v1, s0
	v_lshlrev_b32_e32 v23, v23, v22
	v_lshl_or_b32 v24, v19, 16, v11
	v_and_b32_e32 v19, 7, v20
	v_mul_f64 v[6:7], v[6:7], s[4:5]
	v_add_co_u32 v10, s0, v0, s10
	v_cmp_ne_u32_e64 s1, v23, v25
	v_add_co_ci_u32_e64 v11, s0, s11, v1, s0
	v_cmp_lt_i32_e64 s0, 5, v19
	v_add_nc_u32_e32 v25, 0xfffffc10, v26
	v_cndmask_b32_e64 v23, 0, 1, s1
	v_cmp_eq_u32_e64 s1, 3, v19
	v_lshrrev_b32_e32 v26, 2, v20
	v_cvt_f64_f32_e32 v[19:20], v21
	global_store_dword v[0:1], v14, off
	global_store_dword v[10:11], v24, off
	v_or_b32_e32 v22, v22, v23
	s_or_b32 s0, s1, s0
	v_lshl_or_b32 v23, v25, 12, v2
	v_add_co_ci_u32_e64 v21, s0, 0, v26, s0
	v_cmp_ne_u32_e64 s0, 0, v4
	v_and_or_b32 v6, 0x1ff, v7, v6
	v_cndmask_b32_e64 v4, 0, 1, s0
	v_cmp_gt_i32_e64 s0, 1, v25
	v_lshrrev_b32_e32 v26, 8, v7
	v_bfe_u32 v27, v7, 20, 11
	v_lshrrev_b32_e32 v7, 16, v7
	v_lshl_or_b32 v4, v4, 9, 0x7c00
	v_cndmask_b32_e64 v22, v23, v22, s0
	v_cmp_gt_i32_e64 s0, 31, v16
	v_and_b32_e32 v23, 7, v22
	v_cndmask_b32_e64 v21, 0x7c00, v21, s0
	v_cmp_ne_u32_e64 s0, 0, v6
	v_cmp_eq_u32_e64 s1, 3, v23
	v_cndmask_b32_e64 v6, 0, 1, s0
	v_cmp_eq_u32_e64 s0, 0x40f, v16
	v_and_or_b32 v6, 0xffe, v26, v6
	v_cndmask_b32_e64 v16, v21, v4, s0
	v_cmp_lt_i32_e64 s0, 5, v23
	v_lshrrev_b32_e32 v21, 16, v5
	v_mul_f64 v[4:5], v[19:20], s[4:5]
	v_lshrrev_b32_e32 v20, 2, v22
	v_sub_nc_u32_e32 v26, 0x3f1, v27
	s_or_b32 s0, s1, s0
	v_or_b32_e32 v22, 0x1000, v6
	v_lshrrev_b32_e32 v19, 16, v9
	v_add_co_ci_u32_e64 v20, s0, 0, v20, s0
	v_med3_i32 v23, v26, 0, 13
	v_cmp_ne_u32_e64 s0, 0, v2
	v_mul_f16_sdwa v26, v101, v19 dst_sel:DWORD dst_unused:UNUSED_PAD src0_sel:WORD_1 src1_sel:DWORD
	v_and_or_b32 v16, 0x8000, v21, v16
	v_lshrrev_b32_e32 v28, v23, v22
	v_cndmask_b32_e64 v2, 0, 1, s0
	v_cmp_gt_i32_e64 s0, 31, v25
	v_fmac_f16_e32 v26, v101, v9
	v_and_b32_e32 v16, 0xffff, v16
	v_lshlrev_b32_e32 v21, v23, v28
	v_lshl_or_b32 v2, v2, 9, 0x7c00
	v_cndmask_b32_e64 v20, 0x7c00, v20, s0
	v_cmp_eq_u32_e64 s0, 0x40f, v25
	v_and_or_b32 v4, 0x1ff, v5, v4
	v_cvt_f32_f16_e32 v23, v26
	v_lshrrev_b32_e32 v25, 16, v3
	v_bfe_u32 v26, v5, 20, 11
	v_cndmask_b32_e64 v20, v20, v2, s0
	v_cmp_ne_u32_e64 s0, v21, v22
	v_cvt_f64_f32_e32 v[2:3], v23
	v_add_nc_u32_e32 v22, 0xfffffc10, v27
	v_lshrrev_b32_e32 v23, 8, v5
	v_and_or_b32 v20, 0x8000, v25, v20
	v_cndmask_b32_e64 v21, 0, 1, s0
	v_cmp_ne_u32_e64 s0, 0, v4
	v_lshl_or_b32 v25, v22, 12, v6
	v_mul_f16_sdwa v9, v101, v9 dst_sel:DWORD dst_unused:UNUSED_PAD src0_sel:WORD_1 src1_sel:DWORD
	v_lshl_or_b32 v14, v20, 16, v16
	v_or_b32_e32 v21, v28, v21
	v_cndmask_b32_e64 v4, 0, 1, s0
	v_cmp_gt_i32_e64 s0, 1, v22
	v_fma_f16 v9, v101, v19, -v9
	v_and_or_b32 v4, 0xffe, v23, v4
	v_sub_nc_u32_e32 v23, 0x3f1, v26
	v_cndmask_b32_e64 v21, v25, v21, s0
	v_cvt_f32_f16_e32 v9, v9
	v_or_b32_e32 v25, 0x1000, v4
	v_med3_i32 v23, v23, 0, 13
	v_and_b32_e32 v16, 7, v21
	v_mul_f64 v[0:1], v[2:3], s[4:5]
	v_add_co_u32 v2, s0, v10, s10
	v_lshrrev_b32_e32 v20, v23, v25
	v_add_co_ci_u32_e64 v3, s0, s11, v11, s0
	v_cmp_lt_i32_e64 s0, 5, v16
	v_cmp_eq_u32_e64 s1, 3, v16
	v_lshlrev_b32_e32 v10, v23, v20
	v_lshrrev_b32_e32 v11, 2, v21
	v_add_nc_u32_e32 v16, 0xfffffc10, v26
	global_store_dword v[2:3], v14, off
	s_or_b32 s0, s1, s0
	v_cmp_ne_u32_e64 s2, v10, v25
	v_add_co_ci_u32_e64 v11, s0, 0, v11, s0
	v_cmp_ne_u32_e64 s0, 0, v6
	v_cndmask_b32_e64 v10, 0, 1, s2
	v_cndmask_b32_e64 v6, 0, 1, s0
	v_cmp_gt_i32_e64 s0, 1, v16
	v_or_b32_e32 v19, v20, v10
	v_cvt_f64_f32_e32 v[9:10], v9
	v_lshl_or_b32 v20, v16, 12, v4
	v_and_or_b32 v0, 0x1ff, v1, v0
	v_lshl_or_b32 v6, v6, 9, 0x7c00
	v_lshrrev_b32_e32 v21, 8, v1
	v_bfe_u32 v23, v1, 20, 11
	v_cndmask_b32_e64 v19, v20, v19, s0
	v_cmp_gt_i32_e64 s0, 31, v22
	v_and_b32_e32 v20, 7, v19
	v_cndmask_b32_e64 v11, 0x7c00, v11, s0
	v_cmp_ne_u32_e64 s0, 0, v0
	v_lshrrev_b32_e32 v19, 2, v19
	v_cmp_eq_u32_e64 s1, 3, v20
	v_cndmask_b32_e64 v0, 0, 1, s0
	v_cmp_eq_u32_e64 s0, 0x40f, v22
	v_mul_f64 v[9:10], v[9:10], s[4:5]
	v_and_or_b32 v0, 0xffe, v21, v0
	v_cndmask_b32_e64 v6, v11, v6, s0
	v_cmp_lt_i32_e64 s0, 5, v20
	v_sub_nc_u32_e32 v11, 0x3f1, v23
	v_lshrrev_b32_e32 v20, 16, v8
	v_or_b32_e32 v21, 0x1000, v0
	v_and_or_b32 v6, 0x8000, v7, v6
	s_or_b32 s0, s1, s0
	v_med3_i32 v11, v11, 0, 13
	v_add_co_ci_u32_e64 v19, s0, 0, v19, s0
	v_cmp_ne_u32_e64 s0, 0, v4
	v_mul_f16_sdwa v22, v100, v20 dst_sel:DWORD dst_unused:UNUSED_PAD src0_sel:WORD_1 src1_sel:DWORD
	v_lshrrev_b32_e32 v24, v11, v21
	v_and_b32_e32 v6, 0xffff, v6
	v_cndmask_b32_e64 v4, 0, 1, s0
	v_cmp_gt_i32_e64 s0, 31, v16
	v_lshlrev_b32_e32 v11, v11, v24
	v_fmac_f16_e32 v22, v100, v8
	v_mul_f16_sdwa v8, v100, v8 dst_sel:DWORD dst_unused:UNUSED_PAD src0_sel:WORD_1 src1_sel:DWORD
	v_lshl_or_b32 v4, v4, 9, 0x7c00
	v_cndmask_b32_e64 v19, 0x7c00, v19, s0
	v_cmp_eq_u32_e64 s0, 0x40f, v16
	v_and_or_b32 v9, 0x1ff, v10, v9
	v_cvt_f32_f16_e32 v22, v22
	v_cndmask_b32_e64 v16, v19, v4, s0
	v_cmp_ne_u32_e64 s0, v11, v21
	v_lshrrev_b32_e32 v19, 16, v5
	v_add_nc_u32_e32 v21, 0xfffffc10, v23
	v_cvt_f64_f32_e32 v[4:5], v22
	v_bfe_u32 v22, v10, 20, 11
	v_cndmask_b32_e64 v11, 0, 1, s0
	v_cmp_ne_u32_e64 s0, 0, v9
	v_and_or_b32 v7, 0x8000, v19, v16
	v_lshl_or_b32 v16, v21, 12, v0
	v_lshrrev_b32_e32 v19, 8, v10
	v_or_b32_e32 v11, v24, v11
	v_cndmask_b32_e64 v9, 0, 1, s0
	v_cmp_gt_i32_e64 s0, 1, v21
	v_lshl_or_b32 v6, v7, 16, v6
	v_lshrrev_b32_e32 v10, 16, v10
	v_and_or_b32 v9, 0xffe, v19, v9
	v_cndmask_b32_e64 v11, v16, v11, s0
	v_sub_nc_u32_e32 v16, 0x3f1, v22
	v_add_co_u32 v2, s0, v2, s10
	v_or_b32_e32 v14, 0x1000, v9
	v_and_b32_e32 v7, 7, v11
	v_med3_i32 v16, v16, 0, 13
	v_add_co_ci_u32_e64 v3, s0, s11, v3, s0
	v_mul_f64 v[4:5], v[4:5], s[4:5]
	v_cmp_lt_i32_e64 s0, 5, v7
	v_lshrrev_b32_e32 v19, v16, v14
	v_cmp_eq_u32_e64 s1, 3, v7
	global_store_dword v[2:3], v6, off
	v_lshrrev_b32_e32 v6, 2, v11
	v_fma_f16 v7, v100, v20, -v8
	v_lshlrev_b32_e32 v8, v16, v19
	s_or_b32 s0, s1, s0
	v_add_co_u32 v2, s2, v2, s10
	v_add_co_ci_u32_e64 v11, s0, 0, v6, s0
	v_cmp_ne_u32_e64 s0, v8, v14
	v_cvt_f32_f16_e32 v6, v7
	v_add_nc_u32_e32 v14, 0xfffffc10, v22
	v_lshrrev_b32_e32 v22, 16, v13
	v_add_co_ci_u32_e64 v3, s2, s11, v3, s2
	v_cndmask_b32_e64 v8, 0, 1, s0
	v_cmp_ne_u32_e64 s0, 0, v0
	v_cvt_f64_f32_e32 v[6:7], v6
	v_lshl_or_b32 v16, v14, 12, v9
	v_and_or_b32 v4, 0x1ff, v5, v4
	v_or_b32_e32 v8, v19, v8
	v_cndmask_b32_e64 v0, 0, 1, s0
	v_cmp_gt_i32_e64 s0, 31, v21
	v_bfe_u32 v19, v5, 20, 11
	v_lshl_or_b32 v0, v0, 9, 0x7c00
	v_cndmask_b32_e64 v11, 0x7c00, v11, s0
	v_cmp_gt_i32_e64 s0, 1, v14
	v_cndmask_b32_e64 v8, v16, v8, s0
	v_cmp_ne_u32_e64 s0, 0, v4
	v_lshrrev_b32_e32 v16, 8, v5
	v_lshrrev_b32_e32 v5, 16, v5
	v_and_b32_e32 v20, 7, v8
	v_cndmask_b32_e64 v4, 0, 1, s0
	v_cmp_eq_u32_e64 s0, 0x40f, v21
	v_sub_nc_u32_e32 v21, 0x3f1, v19
	v_lshrrev_b32_e32 v8, 2, v8
	v_cmp_eq_u32_e64 s1, 3, v20
	v_and_or_b32 v4, 0xffe, v16, v4
	v_cndmask_b32_e64 v11, v11, v0, s0
	v_cmp_lt_i32_e64 s0, 5, v20
	v_lshrrev_b32_e32 v16, 16, v1
	v_mul_f64 v[0:1], v[6:7], s[4:5]
	v_or_b32_e32 v23, 0x1000, v4
	v_med3_i32 v6, v21, 0, 13
	v_mul_f16_sdwa v7, v99, v22 dst_sel:DWORD dst_unused:UNUSED_PAD src0_sel:WORD_1 src1_sel:DWORD
	s_or_b32 s0, s1, s0
	v_and_or_b32 v11, 0x8000, v16, v11
	v_add_co_ci_u32_e64 v8, s0, 0, v8, s0
	v_lshrrev_b32_e32 v16, v6, v23
	v_cmp_ne_u32_e64 s0, 0, v9
	v_fmac_f16_e32 v7, v99, v13
	v_add_nc_u32_e32 v19, 0xfffffc10, v19
	v_and_b32_e32 v11, 0xffff, v11
	v_lshlrev_b32_e32 v20, v6, v16
	v_cndmask_b32_e64 v9, 0, 1, s0
	v_cmp_gt_i32_e64 s0, 31, v14
	v_cvt_f32_f16_e32 v7, v7
	v_mul_f16_sdwa v13, v99, v13 dst_sel:DWORD dst_unused:UNUSED_PAD src0_sel:WORD_1 src1_sel:DWORD
	v_lshl_or_b32 v9, v9, 9, 0x7c00
	v_cndmask_b32_e64 v8, 0x7c00, v8, s0
	v_cmp_ne_u32_e64 s0, v20, v23
	v_cvt_f64_f32_e32 v[6:7], v7
	v_and_or_b32 v0, 0x1ff, v1, v0
	v_cndmask_b32_e64 v20, 0, 1, s0
	v_cmp_eq_u32_e64 s0, 0x40f, v14
	v_lshl_or_b32 v14, v19, 12, v4
	v_cndmask_b32_e64 v8, v8, v9, s0
	v_cmp_ne_u32_e64 s0, 0, v0
	v_or_b32_e32 v9, v16, v20
	v_lshrrev_b32_e32 v16, 8, v1
	v_bfe_u32 v20, v1, 20, 11
	v_and_or_b32 v8, 0x8000, v10, v8
	v_cndmask_b32_e64 v0, 0, 1, s0
	v_cmp_gt_i32_e64 s0, 1, v19
	v_sub_nc_u32_e32 v10, 0x3f1, v20
	v_lshl_or_b32 v21, v8, 16, v11
	v_and_or_b32 v0, 0xffe, v16, v0
	v_cndmask_b32_e64 v9, v14, v9, s0
	v_mul_f64 v[6:7], v[6:7], s[4:5]
	v_med3_i32 v10, v10, 0, 13
	v_fma_f16 v8, v99, v22, -v13
	v_or_b32_e32 v16, 0x1000, v0
	v_and_b32_e32 v14, 7, v9
	v_lshrrev_b32_e32 v9, 2, v9
	v_cvt_f32_f16_e32 v8, v8
	v_lshrrev_b32_e32 v11, v10, v16
	v_cmp_lt_i32_e64 s0, 5, v14
	v_cmp_eq_u32_e64 s1, 3, v14
	v_add_nc_u32_e32 v14, 0xfffffc10, v20
	v_lshlrev_b32_e32 v10, v10, v11
	s_or_b32 s0, s1, s0
	v_add_co_ci_u32_e64 v13, s0, 0, v9, s0
	v_cmp_ne_u32_e64 s0, v10, v16
	v_cvt_f64_f32_e32 v[8:9], v8
	v_and_or_b32 v6, 0x1ff, v7, v6
	v_lshrrev_b32_e32 v16, 8, v7
	v_cndmask_b32_e64 v10, 0, 1, s0
	v_cmp_gt_i32_e64 s0, 31, v19
	v_bfe_u32 v20, v7, 20, 11
	v_or_b32_e32 v10, v11, v10
	v_cndmask_b32_e64 v13, 0x7c00, v13, s0
	v_cmp_ne_u32_e64 s0, 0, v6
	v_lshl_or_b32 v11, v14, 12, v0
	v_cndmask_b32_e64 v6, 0, 1, s0
	v_cmp_ne_u32_e64 s0, 0, v4
	v_and_or_b32 v6, 0xffe, v16, v6
	v_cndmask_b32_e64 v4, 0, 1, s0
	v_cmp_gt_i32_e64 s0, 1, v14
	v_lshrrev_b32_e32 v16, 16, v12
	v_mul_f64 v[8:9], v[8:9], s[4:5]
	v_or_b32_e32 v23, 0x1000, v6
	v_lshl_or_b32 v4, v4, 9, 0x7c00
	v_cndmask_b32_e64 v10, v11, v10, s0
	v_sub_nc_u32_e32 v11, 0x3f1, v20
	v_cmp_eq_u32_e64 s0, 0x40f, v19
	v_mul_f16_sdwa v24, v98, v16 dst_sel:DWORD dst_unused:UNUSED_PAD src0_sel:WORD_1 src1_sel:DWORD
	v_add_nc_u32_e32 v20, 0xfffffc10, v20
	v_and_b32_e32 v22, 7, v10
	v_med3_i32 v11, v11, 0, 13
	v_cndmask_b32_e64 v4, v13, v4, s0
	v_fmac_f16_e32 v24, v98, v12
	v_cmp_lt_i32_e64 s0, 5, v22
	v_lshrrev_b32_e32 v13, v11, v23
	v_cmp_eq_u32_e64 s1, 3, v22
	v_and_or_b32 v19, 0x8000, v5, v4
	v_lshrrev_b32_e32 v4, 2, v10
	v_cvt_f32_f16_e32 v10, v24
	v_lshlrev_b32_e32 v5, v11, v13
	s_or_b32 s0, s1, s0
	v_add_co_ci_u32_e64 v11, s0, 0, v4, s0
	v_cmp_ne_u32_e64 s0, v5, v23
	v_cvt_f64_f32_e32 v[4:5], v10
	v_and_or_b32 v8, 0x1ff, v9, v8
	v_cndmask_b32_e64 v22, 0, 1, s0
	v_cmp_ne_u32_e64 s0, 0, v0
	v_or_b32_e32 v10, v13, v22
	v_cndmask_b32_e64 v0, 0, 1, s0
	v_cmp_gt_i32_e64 s0, 31, v14
	v_lshl_or_b32 v13, v20, 12, v6
	v_bfe_u32 v22, v9, 20, 11
	v_lshl_or_b32 v0, v0, 9, 0x7c00
	v_cndmask_b32_e64 v11, 0x7c00, v11, s0
	v_cmp_gt_i32_e64 s0, 1, v20
	v_cndmask_b32_e64 v10, v13, v10, s0
	v_cmp_ne_u32_e64 s0, 0, v8
	v_lshrrev_b32_e32 v13, 8, v9
	v_and_b32_e32 v23, 7, v10
	v_cndmask_b32_e64 v8, 0, 1, s0
	v_cmp_eq_u32_e64 s0, 0x40f, v14
	v_lshrrev_b32_e32 v14, 16, v1
	v_lshrrev_b32_e32 v10, 2, v10
	v_cmp_eq_u32_e64 s1, 3, v23
	v_and_or_b32 v8, 0xffe, v13, v8
	v_sub_nc_u32_e32 v13, 0x3f1, v22
	v_cndmask_b32_e64 v11, v11, v0, s0
	v_cmp_lt_i32_e64 s0, 5, v23
	v_mul_f64 v[0:1], v[4:5], s[4:5]
	v_or_b32_e32 v4, 0x1000, v8
	v_med3_i32 v5, v13, 0, 13
	v_and_or_b32 v11, 0x8000, v14, v11
	s_or_b32 s0, s1, s0
	v_and_b32_e32 v13, 0xffff, v19
	v_add_co_ci_u32_e64 v10, s0, 0, v10, s0
	v_lshrrev_b32_e32 v14, v5, v4
	v_cmp_ne_u32_e64 s0, 0, v6
	v_lshl_or_b32 v13, v11, 16, v13
	v_mul_f16_sdwa v11, v98, v12 dst_sel:DWORD dst_unused:UNUSED_PAD src0_sel:WORD_1 src1_sel:DWORD
	v_add_nc_u32_e32 v12, 0xfffffc10, v22
	v_lshlrev_b32_e32 v5, v5, v14
	v_cndmask_b32_e64 v6, 0, 1, s0
	v_cmp_gt_i32_e64 s0, 31, v20
	v_lshrrev_b32_e32 v19, 16, v7
	v_lshl_or_b32 v6, v6, 9, 0x7c00
	v_cndmask_b32_e64 v10, 0x7c00, v10, s0
	v_cmp_ne_u32_e64 s0, v5, v4
	v_and_or_b32 v0, 0x1ff, v1, v0
	v_fma_f16 v5, v98, v16, -v11
	v_lshl_or_b32 v11, v12, 12, v8
	v_bfe_u32 v16, v1, 20, 11
	v_cndmask_b32_e64 v4, 0, 1, s0
	v_cmp_eq_u32_e64 s0, 0x40f, v20
	v_cndmask_b32_e64 v10, v10, v6, s0
	v_cmp_ne_u32_e64 s0, 0, v0
	v_or_b32_e32 v6, v14, v4
	v_cvt_f32_f16_e32 v4, v5
	v_lshrrev_b32_e32 v14, 8, v1
	v_and_or_b32 v19, 0x8000, v19, v10
	v_cndmask_b32_e64 v0, 0, 1, s0
	v_cmp_gt_i32_e64 s0, 1, v12
	v_cvt_f64_f32_e32 v[4:5], v4
	v_lshrrev_b32_e32 v1, 16, v1
	v_and_or_b32 v0, 0xffe, v14, v0
	v_cndmask_b32_e64 v11, v11, v6, s0
	v_sub_nc_u32_e32 v6, 0x3f1, v16
	v_lshrrev_b32_e32 v14, 16, v15
	v_add_nc_u32_e32 v16, 0xfffffc10, v16
	v_or_b32_e32 v22, 0x1000, v0
	v_and_b32_e32 v20, 7, v11
	v_med3_i32 v23, v6, 0, 13
	v_mul_f16_sdwa v24, v97, v14 dst_sel:DWORD dst_unused:UNUSED_PAD src0_sel:WORD_1 src1_sel:DWORD
	v_add_co_u32 v6, s0, v2, s10
	v_add_co_ci_u32_e64 v7, s0, s11, v3, s0
	v_lshrrev_b32_e32 v25, v23, v22
	v_fmac_f16_e32 v24, v97, v15
	v_cmp_lt_i32_e64 s0, 5, v20
	v_cmp_eq_u32_e64 s1, 3, v20
	v_lshrrev_b32_e32 v10, 2, v11
	v_lshlrev_b32_e32 v20, v23, v25
	v_cvt_f32_f16_e32 v11, v24
	v_mul_f64 v[4:5], v[4:5], s[4:5]
	s_or_b32 s0, s1, s0
	v_mul_f16_sdwa v15, v97, v15 dst_sel:DWORD dst_unused:UNUSED_PAD src0_sel:WORD_1 src1_sel:DWORD
	v_add_co_ci_u32_e64 v23, s0, 0, v10, s0
	v_cmp_ne_u32_e64 s0, v20, v22
	v_cvt_f64_f32_e32 v[10:11], v11
	v_lshl_or_b32 v22, v16, 12, v0
	v_fma_f16 v14, v97, v14, -v15
	v_cndmask_b32_e64 v20, 0, 1, s0
	v_cmp_ne_u32_e64 s0, 0, v8
	v_cvt_f32_f16_e32 v14, v14
	v_or_b32_e32 v20, v25, v20
	v_cndmask_b32_e64 v8, 0, 1, s0
	v_cmp_gt_i32_e64 s0, 31, v12
	v_lshl_or_b32 v8, v8, 9, 0x7c00
	v_cndmask_b32_e64 v15, 0x7c00, v23, s0
	v_cmp_gt_i32_e64 s0, 1, v16
	v_and_or_b32 v4, 0x1ff, v5, v4
	v_bfe_u32 v23, v5, 20, 11
	v_cndmask_b32_e64 v20, v22, v20, s0
	v_cmp_eq_u32_e64 s0, 0x40f, v12
	v_mul_f64 v[10:11], v[10:11], s[4:5]
	v_lshrrev_b32_e32 v22, 8, v5
	v_lshrrev_b32_e32 v5, 16, v5
	v_cndmask_b32_e64 v12, v15, v8, s0
	v_lshrrev_b32_e32 v15, 16, v9
	v_cvt_f64_f32_e32 v[8:9], v14
	v_cmp_ne_u32_e64 s0, 0, v4
	v_and_b32_e32 v14, 7, v20
	v_and_or_b32 v12, 0x8000, v15, v12
	v_and_b32_e32 v15, 0xffff, v19
	v_cndmask_b32_e64 v4, 0, 1, s0
	v_cmp_lt_i32_e64 s0, 5, v14
	v_cmp_eq_u32_e64 s1, 3, v14
	v_lshrrev_b32_e32 v14, 2, v20
	v_sub_nc_u32_e32 v19, 0x3f1, v23
	v_and_or_b32 v4, 0xffe, v22, v4
	v_lshl_or_b32 v12, v12, 16, v15
	s_or_b32 s0, s1, s0
	v_add_co_ci_u32_e64 v14, s0, 0, v14, s0
	v_or_b32_e32 v15, 0x1000, v4
	v_med3_i32 v19, v19, 0, 13
	v_cmp_ne_u32_e64 s0, 0, v0
	v_and_or_b32 v10, 0x1ff, v11, v10
	v_lshrrev_b32_e32 v22, 8, v11
	v_mul_f64 v[8:9], v[8:9], s[4:5]
	v_lshrrev_b32_e32 v20, v19, v15
	v_cndmask_b32_e64 v0, 0, 1, s0
	v_cmp_gt_i32_e64 s0, 31, v16
	v_bfe_u32 v24, v11, 20, 11
	v_lshrrev_b32_e32 v11, 16, v11
	v_lshlrev_b32_e32 v19, v19, v20
	v_lshl_or_b32 v0, v0, 9, 0x7c00
	v_cndmask_b32_e64 v14, 0x7c00, v14, s0
	v_cmp_ne_u32_e64 s0, 0, v10
	v_cndmask_b32_e64 v10, 0, 1, s0
	v_cmp_ne_u32_e64 s0, v19, v15
	v_add_nc_u32_e32 v19, 0xfffffc10, v23
	v_and_or_b32 v10, 0xffe, v22, v10
	v_cndmask_b32_e64 v15, 0, 1, s0
	v_sub_nc_u32_e32 v22, 0x3f1, v24
	v_cmp_eq_u32_e64 s0, 0x40f, v16
	v_and_or_b32 v8, 0x1ff, v9, v8
	v_or_b32_e32 v16, 0x1000, v10
	v_bfe_u32 v23, v9, 20, 11
	v_cndmask_b32_e64 v0, v14, v0, s0
	v_or_b32_e32 v14, v20, v15
	v_lshl_or_b32 v15, v19, 12, v4
	v_med3_i32 v20, v22, 0, 13
	v_cmp_gt_i32_e64 s0, 1, v19
	v_lshrrev_b32_e32 v22, 8, v9
	v_and_or_b32 v0, 0x8000, v1, v0
	v_cndmask_b32_e64 v14, v15, v14, s0
	v_lshrrev_b32_e32 v15, v20, v16
	v_cmp_ne_u32_e64 s0, 0, v8
	v_and_b32_e32 v0, 0xffff, v0
	v_and_b32_e32 v25, 7, v14
	v_lshlrev_b32_e32 v20, v20, v15
	v_cndmask_b32_e64 v8, 0, 1, s0
	v_lshrrev_b32_e32 v14, 2, v14
	v_cmp_lt_i32_e64 s0, 5, v25
	v_cmp_ne_u32_e64 s1, v20, v16
	v_and_or_b32 v1, 0xffe, v22, v8
	v_sub_nc_u32_e32 v8, 0x3f1, v23
	v_add_nc_u32_e32 v22, 0xfffffc10, v24
	v_cndmask_b32_e64 v16, 0, 1, s1
	v_cmp_eq_u32_e64 s1, 3, v25
	v_or_b32_e32 v20, 0x1000, v1
	v_med3_i32 v8, v8, 0, 13
	v_lshl_or_b32 v24, v22, 12, v10
	v_or_b32_e32 v15, v15, v16
	s_or_b32 s0, s1, s0
	v_add_co_ci_u32_e64 v14, s0, 0, v14, s0
	v_lshrrev_b32_e32 v16, v8, v20
	v_cmp_gt_i32_e64 s0, 1, v22
	v_lshlrev_b32_e32 v8, v8, v16
	v_cndmask_b32_e64 v15, v24, v15, s0
	v_cmp_ne_u32_e64 s0, 0, v4
	v_cndmask_b32_e64 v4, 0, 1, s0
	v_cmp_ne_u32_e64 s0, v8, v20
	v_add_nc_u32_e32 v20, 0xfffffc10, v23
	v_and_b32_e32 v23, 7, v15
	v_lshl_or_b32 v4, v4, 9, 0x7c00
	v_cndmask_b32_e64 v8, 0, 1, s0
	v_cmp_gt_i32_e64 s0, 31, v19
	v_cmp_gt_i32_e64 s2, 1, v20
	v_cmp_eq_u32_e64 s1, 3, v23
	v_or_b32_e32 v8, v16, v8
	v_lshl_or_b32 v16, v20, 12, v1
	v_cndmask_b32_e64 v14, 0x7c00, v14, s0
	v_cmp_lt_i32_e64 s0, 5, v23
	v_cndmask_b32_e64 v8, v16, v8, s2
	v_cmp_eq_u32_e64 s2, 0x40f, v19
	s_or_b32 s0, s1, s0
	v_cndmask_b32_e64 v4, v14, v4, s2
	v_lshrrev_b32_e32 v14, 2, v15
	v_and_b32_e32 v15, 7, v8
	v_lshrrev_b32_e32 v8, 2, v8
	v_cmp_gt_i32_e64 s2, 31, v22
	v_add_co_ci_u32_e64 v14, s0, 0, v14, s0
	v_cmp_ne_u32_e64 s0, 0, v10
	v_cmp_eq_u32_e64 s1, 3, v15
	v_cndmask_b32_e64 v14, 0x7c00, v14, s2
	v_cndmask_b32_e64 v10, 0, 1, s0
	v_cmp_lt_i32_e64 s0, 5, v15
	v_lshl_or_b32 v10, v10, 9, 0x7c00
	s_or_b32 s0, s1, s0
	v_add_co_ci_u32_e64 v8, s0, 0, v8, s0
	v_cmp_ne_u32_e64 s0, 0, v1
	v_cndmask_b32_e64 v1, 0, 1, s0
	v_cmp_eq_u32_e64 s0, 0x40f, v22
	v_lshl_or_b32 v1, v1, 9, 0x7c00
	v_cndmask_b32_e64 v10, v14, v10, s0
	v_cmp_gt_i32_e64 s0, 31, v20
	v_and_or_b32 v14, 0x8000, v5, v4
	v_and_or_b32 v10, 0x8000, v11, v10
	v_cndmask_b32_e64 v8, 0x7c00, v8, s0
	v_cmp_eq_u32_e64 s0, 0x40f, v20
	v_lshl_or_b32 v11, v14, 16, v0
	v_cndmask_b32_e64 v1, v8, v1, s0
	v_lshrrev_b32_e32 v8, 16, v9
	v_add_co_u32 v4, s0, v6, s10
	v_add_co_ci_u32_e64 v5, s0, s11, v7, s0
	v_and_or_b32 v0, 0x8000, v8, v1
	v_and_b32_e32 v1, 0xffff, v10
	v_add_co_u32 v8, s0, v4, s10
	v_add_co_ci_u32_e64 v9, s0, s11, v5, s0
	v_lshl_or_b32 v10, v0, 16, v1
	v_add_co_u32 v0, s0, v8, s10
	v_add_co_ci_u32_e64 v1, s0, s11, v9, s0
	global_store_dword v[2:3], v21, off
	global_store_dword v[6:7], v13, off
	;; [unrolled: 1-line block ×5, first 2 shown]
	s_and_b32 exec_lo, exec_lo, vcc_lo
	s_cbranch_execz .LBB0_15
; %bb.14:
	global_load_dword v4, v[60:61], off offset:440
	ds_read2_b32 v[2:3], v95 offset0:110 offset1:235
	s_waitcnt lgkmcnt(0)
	v_lshrrev_b32_e32 v5, 16, v2
	s_waitcnt vmcnt(0)
	v_mul_f16_sdwa v6, v5, v4 dst_sel:DWORD dst_unused:UNUSED_PAD src0_sel:DWORD src1_sel:WORD_1
	v_mul_f16_sdwa v7, v2, v4 dst_sel:DWORD dst_unused:UNUSED_PAD src0_sel:DWORD src1_sel:WORD_1
	v_fmac_f16_e32 v6, v2, v4
	v_fma_f16 v2, v4, v5, -v7
	v_cvt_f32_f16_e32 v4, v6
	v_cvt_f32_f16_e32 v2, v2
	v_cvt_f64_f32_e32 v[4:5], v4
	v_cvt_f64_f32_e32 v[6:7], v2
	v_mul_f64 v[4:5], v[4:5], s[4:5]
	v_mul_f64 v[6:7], v[6:7], s[4:5]
	v_and_or_b32 v2, 0x1ff, v5, v4
	v_and_or_b32 v6, 0x1ff, v7, v6
	v_lshrrev_b32_e32 v4, 8, v5
	v_bfe_u32 v8, v5, 20, 11
	v_lshrrev_b32_e32 v9, 8, v7
	v_cmp_ne_u32_e32 vcc_lo, 0, v2
	v_bfe_u32 v10, v7, 20, 11
	v_lshrrev_b32_e32 v5, 16, v5
	v_sub_nc_u32_e32 v11, 0x3f1, v8
	v_add_nc_u32_e32 v8, 0xfffffc10, v8
	v_cndmask_b32_e64 v2, 0, 1, vcc_lo
	v_cmp_ne_u32_e32 vcc_lo, 0, v6
	v_lshrrev_b32_e32 v7, 16, v7
	v_and_or_b32 v2, 0xffe, v4, v2
	v_cndmask_b32_e64 v6, 0, 1, vcc_lo
	v_sub_nc_u32_e32 v4, 0x3f1, v10
	v_add_nc_u32_e32 v10, 0xfffffc10, v10
	v_and_or_b32 v6, 0xffe, v9, v6
	v_med3_i32 v9, v11, 0, 13
	v_or_b32_e32 v11, 0x1000, v2
	v_med3_i32 v4, v4, 0, 13
	v_or_b32_e32 v12, 0x1000, v6
	v_lshrrev_b32_e32 v13, v9, v11
	v_lshrrev_b32_e32 v14, v4, v12
	v_lshlrev_b32_e32 v9, v9, v13
	v_lshlrev_b32_e32 v4, v4, v14
	v_cmp_ne_u32_e32 vcc_lo, v9, v11
	v_lshl_or_b32 v11, v8, 12, v2
	v_cndmask_b32_e64 v9, 0, 1, vcc_lo
	v_cmp_ne_u32_e32 vcc_lo, v4, v12
	v_lshl_or_b32 v12, v10, 12, v6
	v_or_b32_e32 v9, v13, v9
	v_cndmask_b32_e64 v4, 0, 1, vcc_lo
	v_cmp_gt_i32_e32 vcc_lo, 1, v8
	v_or_b32_e32 v4, v14, v4
	v_cndmask_b32_e32 v9, v11, v9, vcc_lo
	v_cmp_gt_i32_e32 vcc_lo, 1, v10
	v_and_b32_e32 v11, 7, v9
	v_cndmask_b32_e32 v4, v12, v4, vcc_lo
	v_cmp_ne_u32_e32 vcc_lo, 0, v2
	v_lshrrev_b32_e32 v9, 2, v9
	v_cmp_eq_u32_e64 s0, 3, v11
	v_and_b32_e32 v12, 7, v4
	v_cndmask_b32_e64 v2, 0, 1, vcc_lo
	v_cmp_ne_u32_e32 vcc_lo, 0, v6
	v_lshrrev_b32_e32 v4, 2, v4
	v_cmp_lt_i32_e64 s1, 5, v12
	v_cmp_eq_u32_e64 s2, 3, v12
	v_cndmask_b32_e64 v6, 0, 1, vcc_lo
	v_cmp_lt_i32_e32 vcc_lo, 5, v11
	v_lshl_or_b32 v2, v2, 9, 0x7c00
	v_lshl_or_b32 v6, v6, 9, 0x7c00
	s_or_b32 vcc_lo, s0, vcc_lo
	v_add_co_ci_u32_e32 v9, vcc_lo, 0, v9, vcc_lo
	s_or_b32 vcc_lo, s2, s1
	v_add_co_ci_u32_e32 v4, vcc_lo, 0, v4, vcc_lo
	v_cmp_gt_i32_e32 vcc_lo, 31, v8
	v_cndmask_b32_e32 v9, 0x7c00, v9, vcc_lo
	v_cmp_gt_i32_e32 vcc_lo, 31, v10
	v_cndmask_b32_e32 v4, 0x7c00, v4, vcc_lo
	v_cmp_eq_u32_e32 vcc_lo, 0x40f, v8
	v_cndmask_b32_e32 v2, v9, v2, vcc_lo
	v_cmp_eq_u32_e32 vcc_lo, 0x40f, v10
	v_and_or_b32 v2, 0x8000, v5, v2
	v_cndmask_b32_e32 v4, v4, v6, vcc_lo
	v_add_co_u32 v0, vcc_lo, v0, s12
	v_add_co_ci_u32_e32 v1, vcc_lo, s13, v1, vcc_lo
	v_and_or_b32 v4, 0x8000, v7, v4
	v_and_b32_e32 v2, 0xffff, v2
	v_lshl_or_b32 v2, v4, 16, v2
	v_lshrrev_b32_e32 v4, 16, v3
	global_store_dword v[0:1], v2, off
	global_load_dword v2, v[60:61], off offset:940
	s_waitcnt vmcnt(0)
	v_mul_f16_sdwa v5, v4, v2 dst_sel:DWORD dst_unused:UNUSED_PAD src0_sel:DWORD src1_sel:WORD_1
	v_mul_f16_sdwa v6, v3, v2 dst_sel:DWORD dst_unused:UNUSED_PAD src0_sel:DWORD src1_sel:WORD_1
	v_fmac_f16_e32 v5, v3, v2
	v_fma_f16 v2, v2, v4, -v6
	v_cvt_f32_f16_e32 v3, v5
	v_cvt_f32_f16_e32 v4, v2
	v_cvt_f64_f32_e32 v[2:3], v3
	v_cvt_f64_f32_e32 v[4:5], v4
	v_mul_f64 v[2:3], v[2:3], s[4:5]
	v_mul_f64 v[4:5], v[4:5], s[4:5]
	v_and_or_b32 v2, 0x1ff, v3, v2
	v_and_or_b32 v4, 0x1ff, v5, v4
	v_lshrrev_b32_e32 v6, 8, v3
	v_bfe_u32 v7, v3, 20, 11
	v_lshrrev_b32_e32 v8, 8, v5
	v_cmp_ne_u32_e32 vcc_lo, 0, v2
	v_bfe_u32 v9, v5, 20, 11
	v_lshrrev_b32_e32 v3, 16, v3
	v_sub_nc_u32_e32 v10, 0x3f1, v7
	v_add_nc_u32_e32 v7, 0xfffffc10, v7
	v_cndmask_b32_e64 v2, 0, 1, vcc_lo
	v_cmp_ne_u32_e32 vcc_lo, 0, v4
	v_lshrrev_b32_e32 v5, 16, v5
	v_and_or_b32 v2, 0xffe, v6, v2
	v_cndmask_b32_e64 v4, 0, 1, vcc_lo
	v_sub_nc_u32_e32 v6, 0x3f1, v9
	v_add_nc_u32_e32 v9, 0xfffffc10, v9
	v_and_or_b32 v4, 0xffe, v8, v4
	v_med3_i32 v8, v10, 0, 13
	v_or_b32_e32 v10, 0x1000, v2
	v_med3_i32 v6, v6, 0, 13
	v_or_b32_e32 v11, 0x1000, v4
	v_lshrrev_b32_e32 v12, v8, v10
	v_lshrrev_b32_e32 v13, v6, v11
	v_lshlrev_b32_e32 v8, v8, v12
	v_lshlrev_b32_e32 v6, v6, v13
	v_cmp_ne_u32_e32 vcc_lo, v8, v10
	v_lshl_or_b32 v10, v7, 12, v2
	v_cndmask_b32_e64 v8, 0, 1, vcc_lo
	v_cmp_ne_u32_e32 vcc_lo, v6, v11
	v_lshl_or_b32 v11, v9, 12, v4
	v_or_b32_e32 v8, v12, v8
	v_cndmask_b32_e64 v6, 0, 1, vcc_lo
	v_cmp_gt_i32_e32 vcc_lo, 1, v7
	v_or_b32_e32 v6, v13, v6
	v_cndmask_b32_e32 v8, v10, v8, vcc_lo
	v_cmp_gt_i32_e32 vcc_lo, 1, v9
	v_and_b32_e32 v10, 7, v8
	v_cndmask_b32_e32 v6, v11, v6, vcc_lo
	v_cmp_ne_u32_e32 vcc_lo, 0, v2
	v_lshrrev_b32_e32 v8, 2, v8
	v_cmp_eq_u32_e64 s0, 3, v10
	v_and_b32_e32 v11, 7, v6
	v_cndmask_b32_e64 v2, 0, 1, vcc_lo
	v_cmp_ne_u32_e32 vcc_lo, 0, v4
	v_lshrrev_b32_e32 v6, 2, v6
	v_cmp_lt_i32_e64 s1, 5, v11
	v_cmp_eq_u32_e64 s2, 3, v11
	v_cndmask_b32_e64 v4, 0, 1, vcc_lo
	v_cmp_lt_i32_e32 vcc_lo, 5, v10
	v_lshl_or_b32 v2, v2, 9, 0x7c00
	v_lshl_or_b32 v4, v4, 9, 0x7c00
	s_or_b32 vcc_lo, s0, vcc_lo
	v_add_co_ci_u32_e32 v8, vcc_lo, 0, v8, vcc_lo
	s_or_b32 vcc_lo, s2, s1
	v_add_co_ci_u32_e32 v6, vcc_lo, 0, v6, vcc_lo
	v_cmp_gt_i32_e32 vcc_lo, 31, v7
	v_cndmask_b32_e32 v8, 0x7c00, v8, vcc_lo
	v_cmp_gt_i32_e32 vcc_lo, 31, v9
	v_cndmask_b32_e32 v6, 0x7c00, v6, vcc_lo
	v_cmp_eq_u32_e32 vcc_lo, 0x40f, v7
	v_cndmask_b32_e32 v2, v8, v2, vcc_lo
	v_cmp_eq_u32_e32 vcc_lo, 0x40f, v9
	v_and_or_b32 v2, 0x8000, v3, v2
	v_cndmask_b32_e32 v4, v6, v4, vcc_lo
	v_add_co_u32 v0, vcc_lo, v0, s10
	v_add_co_ci_u32_e32 v1, vcc_lo, s11, v1, vcc_lo
	v_and_or_b32 v3, 0x8000, v5, v4
	v_and_b32_e32 v2, 0xffff, v2
	v_lshl_or_b32 v2, v3, 16, v2
	global_store_dword v[0:1], v2, off
	global_load_dword v4, v[60:61], off offset:1440
	ds_read2_b32 v[2:3], v72 offset0:104 offset1:229
	s_waitcnt lgkmcnt(0)
	v_lshrrev_b32_e32 v5, 16, v2
	s_waitcnt vmcnt(0)
	v_mul_f16_sdwa v6, v5, v4 dst_sel:DWORD dst_unused:UNUSED_PAD src0_sel:DWORD src1_sel:WORD_1
	v_mul_f16_sdwa v7, v2, v4 dst_sel:DWORD dst_unused:UNUSED_PAD src0_sel:DWORD src1_sel:WORD_1
	v_fmac_f16_e32 v6, v2, v4
	v_fma_f16 v2, v4, v5, -v7
	v_cvt_f32_f16_e32 v4, v6
	v_cvt_f32_f16_e32 v2, v2
	v_cvt_f64_f32_e32 v[4:5], v4
	v_cvt_f64_f32_e32 v[6:7], v2
	v_mul_f64 v[4:5], v[4:5], s[4:5]
	v_mul_f64 v[6:7], v[6:7], s[4:5]
	v_and_or_b32 v2, 0x1ff, v5, v4
	v_and_or_b32 v6, 0x1ff, v7, v6
	v_lshrrev_b32_e32 v4, 8, v5
	v_bfe_u32 v8, v5, 20, 11
	v_lshrrev_b32_e32 v9, 8, v7
	v_cmp_ne_u32_e32 vcc_lo, 0, v2
	v_bfe_u32 v10, v7, 20, 11
	v_lshrrev_b32_e32 v5, 16, v5
	v_sub_nc_u32_e32 v11, 0x3f1, v8
	v_add_nc_u32_e32 v8, 0xfffffc10, v8
	v_cndmask_b32_e64 v2, 0, 1, vcc_lo
	v_cmp_ne_u32_e32 vcc_lo, 0, v6
	v_lshrrev_b32_e32 v7, 16, v7
	v_and_or_b32 v2, 0xffe, v4, v2
	v_cndmask_b32_e64 v6, 0, 1, vcc_lo
	v_sub_nc_u32_e32 v4, 0x3f1, v10
	v_add_nc_u32_e32 v10, 0xfffffc10, v10
	v_and_or_b32 v6, 0xffe, v9, v6
	v_med3_i32 v9, v11, 0, 13
	v_or_b32_e32 v11, 0x1000, v2
	v_med3_i32 v4, v4, 0, 13
	v_or_b32_e32 v12, 0x1000, v6
	v_lshrrev_b32_e32 v13, v9, v11
	v_lshrrev_b32_e32 v14, v4, v12
	v_lshlrev_b32_e32 v9, v9, v13
	v_lshlrev_b32_e32 v4, v4, v14
	v_cmp_ne_u32_e32 vcc_lo, v9, v11
	v_lshl_or_b32 v11, v8, 12, v2
	v_cndmask_b32_e64 v9, 0, 1, vcc_lo
	v_cmp_ne_u32_e32 vcc_lo, v4, v12
	v_lshl_or_b32 v12, v10, 12, v6
	v_or_b32_e32 v9, v13, v9
	v_cndmask_b32_e64 v4, 0, 1, vcc_lo
	v_cmp_gt_i32_e32 vcc_lo, 1, v8
	v_or_b32_e32 v4, v14, v4
	v_cndmask_b32_e32 v9, v11, v9, vcc_lo
	v_cmp_gt_i32_e32 vcc_lo, 1, v10
	v_and_b32_e32 v11, 7, v9
	v_cndmask_b32_e32 v4, v12, v4, vcc_lo
	v_cmp_ne_u32_e32 vcc_lo, 0, v2
	v_lshrrev_b32_e32 v9, 2, v9
	v_cmp_eq_u32_e64 s0, 3, v11
	v_and_b32_e32 v12, 7, v4
	v_cndmask_b32_e64 v2, 0, 1, vcc_lo
	v_cmp_ne_u32_e32 vcc_lo, 0, v6
	v_lshrrev_b32_e32 v4, 2, v4
	v_cmp_lt_i32_e64 s1, 5, v12
	v_cmp_eq_u32_e64 s2, 3, v12
	v_cndmask_b32_e64 v6, 0, 1, vcc_lo
	v_cmp_lt_i32_e32 vcc_lo, 5, v11
	v_lshl_or_b32 v2, v2, 9, 0x7c00
	v_lshl_or_b32 v6, v6, 9, 0x7c00
	s_or_b32 vcc_lo, s0, vcc_lo
	v_add_co_ci_u32_e32 v9, vcc_lo, 0, v9, vcc_lo
	s_or_b32 vcc_lo, s2, s1
	v_add_co_ci_u32_e32 v4, vcc_lo, 0, v4, vcc_lo
	v_cmp_gt_i32_e32 vcc_lo, 31, v8
	v_cndmask_b32_e32 v9, 0x7c00, v9, vcc_lo
	v_cmp_gt_i32_e32 vcc_lo, 31, v10
	v_cndmask_b32_e32 v4, 0x7c00, v4, vcc_lo
	v_cmp_eq_u32_e32 vcc_lo, 0x40f, v8
	v_cndmask_b32_e32 v2, v9, v2, vcc_lo
	v_cmp_eq_u32_e32 vcc_lo, 0x40f, v10
	v_and_or_b32 v2, 0x8000, v5, v2
	v_cndmask_b32_e32 v4, v4, v6, vcc_lo
	v_add_co_u32 v0, vcc_lo, v0, s10
	v_add_co_ci_u32_e32 v1, vcc_lo, s11, v1, vcc_lo
	v_and_or_b32 v4, 0x8000, v7, v4
	v_and_b32_e32 v2, 0xffff, v2
	v_lshl_or_b32 v2, v4, 16, v2
	v_lshrrev_b32_e32 v4, 16, v3
	global_store_dword v[0:1], v2, off
	global_load_dword v2, v[60:61], off offset:1940
	s_waitcnt vmcnt(0)
	v_mul_f16_sdwa v5, v4, v2 dst_sel:DWORD dst_unused:UNUSED_PAD src0_sel:DWORD src1_sel:WORD_1
	v_mul_f16_sdwa v6, v3, v2 dst_sel:DWORD dst_unused:UNUSED_PAD src0_sel:DWORD src1_sel:WORD_1
	v_fmac_f16_e32 v5, v3, v2
	v_fma_f16 v2, v2, v4, -v6
	v_cvt_f32_f16_e32 v3, v5
	v_cvt_f32_f16_e32 v4, v2
	v_cvt_f64_f32_e32 v[2:3], v3
	v_cvt_f64_f32_e32 v[4:5], v4
	v_mul_f64 v[2:3], v[2:3], s[4:5]
	v_mul_f64 v[4:5], v[4:5], s[4:5]
	v_and_or_b32 v2, 0x1ff, v3, v2
	v_and_or_b32 v4, 0x1ff, v5, v4
	v_lshrrev_b32_e32 v6, 8, v3
	v_bfe_u32 v7, v3, 20, 11
	v_lshrrev_b32_e32 v8, 8, v5
	v_cmp_ne_u32_e32 vcc_lo, 0, v2
	v_bfe_u32 v9, v5, 20, 11
	v_lshrrev_b32_e32 v3, 16, v3
	v_sub_nc_u32_e32 v10, 0x3f1, v7
	v_add_nc_u32_e32 v7, 0xfffffc10, v7
	v_cndmask_b32_e64 v2, 0, 1, vcc_lo
	v_cmp_ne_u32_e32 vcc_lo, 0, v4
	v_lshrrev_b32_e32 v5, 16, v5
	v_and_or_b32 v2, 0xffe, v6, v2
	v_cndmask_b32_e64 v4, 0, 1, vcc_lo
	v_sub_nc_u32_e32 v6, 0x3f1, v9
	v_add_nc_u32_e32 v9, 0xfffffc10, v9
	v_and_or_b32 v4, 0xffe, v8, v4
	v_med3_i32 v8, v10, 0, 13
	v_or_b32_e32 v10, 0x1000, v2
	v_med3_i32 v6, v6, 0, 13
	v_or_b32_e32 v11, 0x1000, v4
	v_lshrrev_b32_e32 v12, v8, v10
	v_lshrrev_b32_e32 v13, v6, v11
	v_lshlrev_b32_e32 v8, v8, v12
	v_lshlrev_b32_e32 v6, v6, v13
	v_cmp_ne_u32_e32 vcc_lo, v8, v10
	v_lshl_or_b32 v10, v7, 12, v2
	v_cndmask_b32_e64 v8, 0, 1, vcc_lo
	v_cmp_ne_u32_e32 vcc_lo, v6, v11
	v_lshl_or_b32 v11, v9, 12, v4
	v_or_b32_e32 v8, v12, v8
	v_cndmask_b32_e64 v6, 0, 1, vcc_lo
	v_cmp_gt_i32_e32 vcc_lo, 1, v7
	v_or_b32_e32 v6, v13, v6
	v_cndmask_b32_e32 v8, v10, v8, vcc_lo
	v_cmp_gt_i32_e32 vcc_lo, 1, v9
	v_and_b32_e32 v10, 7, v8
	v_cndmask_b32_e32 v6, v11, v6, vcc_lo
	v_cmp_ne_u32_e32 vcc_lo, 0, v2
	v_lshrrev_b32_e32 v8, 2, v8
	v_cmp_eq_u32_e64 s0, 3, v10
	v_and_b32_e32 v11, 7, v6
	v_cndmask_b32_e64 v2, 0, 1, vcc_lo
	v_cmp_ne_u32_e32 vcc_lo, 0, v4
	v_lshrrev_b32_e32 v6, 2, v6
	v_cmp_lt_i32_e64 s1, 5, v11
	v_cmp_eq_u32_e64 s2, 3, v11
	v_cndmask_b32_e64 v4, 0, 1, vcc_lo
	v_cmp_lt_i32_e32 vcc_lo, 5, v10
	v_lshl_or_b32 v2, v2, 9, 0x7c00
	v_lshl_or_b32 v4, v4, 9, 0x7c00
	s_or_b32 vcc_lo, s0, vcc_lo
	v_add_co_ci_u32_e32 v8, vcc_lo, 0, v8, vcc_lo
	s_or_b32 vcc_lo, s2, s1
	v_add_co_ci_u32_e32 v6, vcc_lo, 0, v6, vcc_lo
	v_cmp_gt_i32_e32 vcc_lo, 31, v7
	v_cndmask_b32_e32 v8, 0x7c00, v8, vcc_lo
	v_cmp_gt_i32_e32 vcc_lo, 31, v9
	v_cndmask_b32_e32 v6, 0x7c00, v6, vcc_lo
	v_cmp_eq_u32_e32 vcc_lo, 0x40f, v7
	v_cndmask_b32_e32 v2, v8, v2, vcc_lo
	v_cmp_eq_u32_e32 vcc_lo, 0x40f, v9
	v_and_or_b32 v2, 0x8000, v3, v2
	v_cndmask_b32_e32 v4, v6, v4, vcc_lo
	v_add_co_u32 v0, vcc_lo, v0, s10
	v_add_co_ci_u32_e32 v1, vcc_lo, s11, v1, vcc_lo
	v_and_or_b32 v3, 0x8000, v5, v4
	v_and_b32_e32 v2, 0xffff, v2
	v_lshl_or_b32 v2, v3, 16, v2
	global_store_dword v[0:1], v2, off
	global_load_dword v4, v[58:59], off offset:392
	ds_read2_b32 v[2:3], v71 offset0:98 offset1:223
	s_waitcnt lgkmcnt(0)
	v_lshrrev_b32_e32 v5, 16, v2
	s_waitcnt vmcnt(0)
	v_mul_f16_sdwa v6, v5, v4 dst_sel:DWORD dst_unused:UNUSED_PAD src0_sel:DWORD src1_sel:WORD_1
	v_mul_f16_sdwa v7, v2, v4 dst_sel:DWORD dst_unused:UNUSED_PAD src0_sel:DWORD src1_sel:WORD_1
	v_fmac_f16_e32 v6, v2, v4
	v_fma_f16 v2, v4, v5, -v7
	v_cvt_f32_f16_e32 v4, v6
	v_cvt_f32_f16_e32 v2, v2
	v_cvt_f64_f32_e32 v[4:5], v4
	v_cvt_f64_f32_e32 v[6:7], v2
	v_mul_f64 v[4:5], v[4:5], s[4:5]
	v_mul_f64 v[6:7], v[6:7], s[4:5]
	v_and_or_b32 v2, 0x1ff, v5, v4
	v_and_or_b32 v6, 0x1ff, v7, v6
	v_lshrrev_b32_e32 v4, 8, v5
	v_bfe_u32 v8, v5, 20, 11
	v_lshrrev_b32_e32 v9, 8, v7
	v_cmp_ne_u32_e32 vcc_lo, 0, v2
	v_bfe_u32 v10, v7, 20, 11
	v_lshrrev_b32_e32 v5, 16, v5
	v_sub_nc_u32_e32 v11, 0x3f1, v8
	v_add_nc_u32_e32 v8, 0xfffffc10, v8
	v_cndmask_b32_e64 v2, 0, 1, vcc_lo
	v_cmp_ne_u32_e32 vcc_lo, 0, v6
	v_lshrrev_b32_e32 v7, 16, v7
	v_and_or_b32 v2, 0xffe, v4, v2
	v_cndmask_b32_e64 v6, 0, 1, vcc_lo
	v_sub_nc_u32_e32 v4, 0x3f1, v10
	v_add_nc_u32_e32 v10, 0xfffffc10, v10
	v_and_or_b32 v6, 0xffe, v9, v6
	v_med3_i32 v9, v11, 0, 13
	v_or_b32_e32 v11, 0x1000, v2
	v_med3_i32 v4, v4, 0, 13
	v_or_b32_e32 v12, 0x1000, v6
	v_lshrrev_b32_e32 v13, v9, v11
	v_lshrrev_b32_e32 v14, v4, v12
	v_lshlrev_b32_e32 v9, v9, v13
	v_lshlrev_b32_e32 v4, v4, v14
	v_cmp_ne_u32_e32 vcc_lo, v9, v11
	v_lshl_or_b32 v11, v8, 12, v2
	v_cndmask_b32_e64 v9, 0, 1, vcc_lo
	v_cmp_ne_u32_e32 vcc_lo, v4, v12
	v_lshl_or_b32 v12, v10, 12, v6
	v_or_b32_e32 v9, v13, v9
	v_cndmask_b32_e64 v4, 0, 1, vcc_lo
	v_cmp_gt_i32_e32 vcc_lo, 1, v8
	v_or_b32_e32 v4, v14, v4
	v_cndmask_b32_e32 v9, v11, v9, vcc_lo
	v_cmp_gt_i32_e32 vcc_lo, 1, v10
	v_and_b32_e32 v11, 7, v9
	v_cndmask_b32_e32 v4, v12, v4, vcc_lo
	v_cmp_ne_u32_e32 vcc_lo, 0, v2
	v_lshrrev_b32_e32 v9, 2, v9
	v_cmp_eq_u32_e64 s0, 3, v11
	v_and_b32_e32 v12, 7, v4
	v_cndmask_b32_e64 v2, 0, 1, vcc_lo
	v_cmp_ne_u32_e32 vcc_lo, 0, v6
	v_lshrrev_b32_e32 v4, 2, v4
	v_cmp_lt_i32_e64 s1, 5, v12
	v_cmp_eq_u32_e64 s2, 3, v12
	v_cndmask_b32_e64 v6, 0, 1, vcc_lo
	v_cmp_lt_i32_e32 vcc_lo, 5, v11
	v_lshl_or_b32 v2, v2, 9, 0x7c00
	v_lshl_or_b32 v6, v6, 9, 0x7c00
	s_or_b32 vcc_lo, s0, vcc_lo
	v_add_co_ci_u32_e32 v9, vcc_lo, 0, v9, vcc_lo
	s_or_b32 vcc_lo, s2, s1
	v_add_co_ci_u32_e32 v4, vcc_lo, 0, v4, vcc_lo
	v_cmp_gt_i32_e32 vcc_lo, 31, v8
	v_cndmask_b32_e32 v9, 0x7c00, v9, vcc_lo
	v_cmp_gt_i32_e32 vcc_lo, 31, v10
	v_cndmask_b32_e32 v4, 0x7c00, v4, vcc_lo
	v_cmp_eq_u32_e32 vcc_lo, 0x40f, v8
	v_cndmask_b32_e32 v2, v9, v2, vcc_lo
	v_cmp_eq_u32_e32 vcc_lo, 0x40f, v10
	v_and_or_b32 v2, 0x8000, v5, v2
	v_cndmask_b32_e32 v4, v4, v6, vcc_lo
	v_add_co_u32 v0, vcc_lo, v0, s10
	v_add_co_ci_u32_e32 v1, vcc_lo, s11, v1, vcc_lo
	v_and_or_b32 v4, 0x8000, v7, v4
	v_and_b32_e32 v2, 0xffff, v2
	v_lshl_or_b32 v2, v4, 16, v2
	v_lshrrev_b32_e32 v4, 16, v3
	global_store_dword v[0:1], v2, off
	global_load_dword v2, v[58:59], off offset:892
	s_waitcnt vmcnt(0)
	v_mul_f16_sdwa v5, v4, v2 dst_sel:DWORD dst_unused:UNUSED_PAD src0_sel:DWORD src1_sel:WORD_1
	v_mul_f16_sdwa v6, v3, v2 dst_sel:DWORD dst_unused:UNUSED_PAD src0_sel:DWORD src1_sel:WORD_1
	v_fmac_f16_e32 v5, v3, v2
	v_fma_f16 v2, v2, v4, -v6
	v_cvt_f32_f16_e32 v3, v5
	v_cvt_f32_f16_e32 v4, v2
	v_cvt_f64_f32_e32 v[2:3], v3
	v_cvt_f64_f32_e32 v[4:5], v4
	v_mul_f64 v[2:3], v[2:3], s[4:5]
	v_mul_f64 v[4:5], v[4:5], s[4:5]
	v_and_or_b32 v2, 0x1ff, v3, v2
	v_and_or_b32 v4, 0x1ff, v5, v4
	v_lshrrev_b32_e32 v6, 8, v3
	v_bfe_u32 v7, v3, 20, 11
	v_lshrrev_b32_e32 v8, 8, v5
	v_cmp_ne_u32_e32 vcc_lo, 0, v2
	v_bfe_u32 v9, v5, 20, 11
	v_lshrrev_b32_e32 v3, 16, v3
	v_sub_nc_u32_e32 v10, 0x3f1, v7
	v_add_nc_u32_e32 v7, 0xfffffc10, v7
	v_cndmask_b32_e64 v2, 0, 1, vcc_lo
	v_cmp_ne_u32_e32 vcc_lo, 0, v4
	v_lshrrev_b32_e32 v5, 16, v5
	v_and_or_b32 v2, 0xffe, v6, v2
	v_cndmask_b32_e64 v4, 0, 1, vcc_lo
	v_sub_nc_u32_e32 v6, 0x3f1, v9
	v_add_nc_u32_e32 v9, 0xfffffc10, v9
	v_and_or_b32 v4, 0xffe, v8, v4
	v_med3_i32 v8, v10, 0, 13
	v_or_b32_e32 v10, 0x1000, v2
	v_med3_i32 v6, v6, 0, 13
	v_or_b32_e32 v11, 0x1000, v4
	v_lshrrev_b32_e32 v12, v8, v10
	v_lshrrev_b32_e32 v13, v6, v11
	v_lshlrev_b32_e32 v8, v8, v12
	v_lshlrev_b32_e32 v6, v6, v13
	v_cmp_ne_u32_e32 vcc_lo, v8, v10
	v_lshl_or_b32 v10, v7, 12, v2
	v_cndmask_b32_e64 v8, 0, 1, vcc_lo
	v_cmp_ne_u32_e32 vcc_lo, v6, v11
	v_lshl_or_b32 v11, v9, 12, v4
	v_or_b32_e32 v8, v12, v8
	v_cndmask_b32_e64 v6, 0, 1, vcc_lo
	v_cmp_gt_i32_e32 vcc_lo, 1, v7
	v_or_b32_e32 v6, v13, v6
	v_cndmask_b32_e32 v8, v10, v8, vcc_lo
	v_cmp_gt_i32_e32 vcc_lo, 1, v9
	v_and_b32_e32 v10, 7, v8
	v_cndmask_b32_e32 v6, v11, v6, vcc_lo
	v_cmp_ne_u32_e32 vcc_lo, 0, v2
	v_lshrrev_b32_e32 v8, 2, v8
	v_cmp_eq_u32_e64 s0, 3, v10
	v_and_b32_e32 v11, 7, v6
	v_cndmask_b32_e64 v2, 0, 1, vcc_lo
	v_cmp_ne_u32_e32 vcc_lo, 0, v4
	v_lshrrev_b32_e32 v6, 2, v6
	v_cmp_lt_i32_e64 s1, 5, v11
	v_cmp_eq_u32_e64 s2, 3, v11
	v_cndmask_b32_e64 v4, 0, 1, vcc_lo
	v_cmp_lt_i32_e32 vcc_lo, 5, v10
	v_lshl_or_b32 v2, v2, 9, 0x7c00
	v_lshl_or_b32 v4, v4, 9, 0x7c00
	s_or_b32 vcc_lo, s0, vcc_lo
	v_add_co_ci_u32_e32 v8, vcc_lo, 0, v8, vcc_lo
	s_or_b32 vcc_lo, s2, s1
	v_add_co_ci_u32_e32 v6, vcc_lo, 0, v6, vcc_lo
	v_cmp_gt_i32_e32 vcc_lo, 31, v7
	v_cndmask_b32_e32 v8, 0x7c00, v8, vcc_lo
	v_cmp_gt_i32_e32 vcc_lo, 31, v9
	v_cndmask_b32_e32 v6, 0x7c00, v6, vcc_lo
	v_cmp_eq_u32_e32 vcc_lo, 0x40f, v7
	v_cndmask_b32_e32 v2, v8, v2, vcc_lo
	v_cmp_eq_u32_e32 vcc_lo, 0x40f, v9
	v_and_or_b32 v2, 0x8000, v3, v2
	v_cndmask_b32_e32 v4, v6, v4, vcc_lo
	v_add_co_u32 v0, vcc_lo, v0, s10
	v_add_co_ci_u32_e32 v1, vcc_lo, s11, v1, vcc_lo
	v_and_or_b32 v3, 0x8000, v5, v4
	v_and_b32_e32 v2, 0xffff, v2
	v_lshl_or_b32 v2, v3, 16, v2
	global_store_dword v[0:1], v2, off
	global_load_dword v4, v[58:59], off offset:1392
	ds_read2_b32 v[2:3], v70 offset0:92 offset1:217
	s_waitcnt lgkmcnt(0)
	v_lshrrev_b32_e32 v5, 16, v2
	s_waitcnt vmcnt(0)
	v_mul_f16_sdwa v6, v5, v4 dst_sel:DWORD dst_unused:UNUSED_PAD src0_sel:DWORD src1_sel:WORD_1
	v_mul_f16_sdwa v7, v2, v4 dst_sel:DWORD dst_unused:UNUSED_PAD src0_sel:DWORD src1_sel:WORD_1
	v_fmac_f16_e32 v6, v2, v4
	v_fma_f16 v2, v4, v5, -v7
	v_cvt_f32_f16_e32 v4, v6
	v_cvt_f32_f16_e32 v2, v2
	v_cvt_f64_f32_e32 v[4:5], v4
	v_cvt_f64_f32_e32 v[6:7], v2
	v_mul_f64 v[4:5], v[4:5], s[4:5]
	v_mul_f64 v[6:7], v[6:7], s[4:5]
	v_and_or_b32 v2, 0x1ff, v5, v4
	v_and_or_b32 v6, 0x1ff, v7, v6
	v_lshrrev_b32_e32 v4, 8, v5
	v_bfe_u32 v8, v5, 20, 11
	v_lshrrev_b32_e32 v9, 8, v7
	v_cmp_ne_u32_e32 vcc_lo, 0, v2
	v_bfe_u32 v10, v7, 20, 11
	v_lshrrev_b32_e32 v5, 16, v5
	v_sub_nc_u32_e32 v11, 0x3f1, v8
	v_add_nc_u32_e32 v8, 0xfffffc10, v8
	v_cndmask_b32_e64 v2, 0, 1, vcc_lo
	v_cmp_ne_u32_e32 vcc_lo, 0, v6
	v_lshrrev_b32_e32 v7, 16, v7
	v_and_or_b32 v2, 0xffe, v4, v2
	v_cndmask_b32_e64 v6, 0, 1, vcc_lo
	v_sub_nc_u32_e32 v4, 0x3f1, v10
	v_add_nc_u32_e32 v10, 0xfffffc10, v10
	v_and_or_b32 v6, 0xffe, v9, v6
	v_med3_i32 v9, v11, 0, 13
	v_or_b32_e32 v11, 0x1000, v2
	v_med3_i32 v4, v4, 0, 13
	v_or_b32_e32 v12, 0x1000, v6
	v_lshrrev_b32_e32 v13, v9, v11
	v_lshrrev_b32_e32 v14, v4, v12
	v_lshlrev_b32_e32 v9, v9, v13
	v_lshlrev_b32_e32 v4, v4, v14
	v_cmp_ne_u32_e32 vcc_lo, v9, v11
	v_lshl_or_b32 v11, v8, 12, v2
	v_cndmask_b32_e64 v9, 0, 1, vcc_lo
	v_cmp_ne_u32_e32 vcc_lo, v4, v12
	v_lshl_or_b32 v12, v10, 12, v6
	v_or_b32_e32 v9, v13, v9
	v_cndmask_b32_e64 v4, 0, 1, vcc_lo
	v_cmp_gt_i32_e32 vcc_lo, 1, v8
	v_or_b32_e32 v4, v14, v4
	v_cndmask_b32_e32 v9, v11, v9, vcc_lo
	v_cmp_gt_i32_e32 vcc_lo, 1, v10
	v_and_b32_e32 v11, 7, v9
	v_cndmask_b32_e32 v4, v12, v4, vcc_lo
	v_cmp_ne_u32_e32 vcc_lo, 0, v2
	v_lshrrev_b32_e32 v9, 2, v9
	v_cmp_eq_u32_e64 s0, 3, v11
	v_and_b32_e32 v12, 7, v4
	v_cndmask_b32_e64 v2, 0, 1, vcc_lo
	v_cmp_ne_u32_e32 vcc_lo, 0, v6
	v_lshrrev_b32_e32 v4, 2, v4
	v_cmp_lt_i32_e64 s1, 5, v12
	v_cmp_eq_u32_e64 s2, 3, v12
	v_cndmask_b32_e64 v6, 0, 1, vcc_lo
	v_cmp_lt_i32_e32 vcc_lo, 5, v11
	v_lshl_or_b32 v2, v2, 9, 0x7c00
	v_lshl_or_b32 v6, v6, 9, 0x7c00
	s_or_b32 vcc_lo, s0, vcc_lo
	v_add_co_ci_u32_e32 v9, vcc_lo, 0, v9, vcc_lo
	s_or_b32 vcc_lo, s2, s1
	v_add_co_ci_u32_e32 v4, vcc_lo, 0, v4, vcc_lo
	v_cmp_gt_i32_e32 vcc_lo, 31, v8
	v_cndmask_b32_e32 v9, 0x7c00, v9, vcc_lo
	v_cmp_gt_i32_e32 vcc_lo, 31, v10
	v_cndmask_b32_e32 v4, 0x7c00, v4, vcc_lo
	v_cmp_eq_u32_e32 vcc_lo, 0x40f, v8
	v_cndmask_b32_e32 v2, v9, v2, vcc_lo
	v_cmp_eq_u32_e32 vcc_lo, 0x40f, v10
	v_and_or_b32 v2, 0x8000, v5, v2
	v_cndmask_b32_e32 v4, v4, v6, vcc_lo
	v_add_co_u32 v0, vcc_lo, v0, s10
	v_add_co_ci_u32_e32 v1, vcc_lo, s11, v1, vcc_lo
	v_and_or_b32 v4, 0x8000, v7, v4
	v_and_b32_e32 v2, 0xffff, v2
	v_lshl_or_b32 v2, v4, 16, v2
	v_lshrrev_b32_e32 v4, 16, v3
	global_store_dword v[0:1], v2, off
	global_load_dword v2, v[58:59], off offset:1892
	s_waitcnt vmcnt(0)
	v_mul_f16_sdwa v5, v4, v2 dst_sel:DWORD dst_unused:UNUSED_PAD src0_sel:DWORD src1_sel:WORD_1
	v_mul_f16_sdwa v6, v3, v2 dst_sel:DWORD dst_unused:UNUSED_PAD src0_sel:DWORD src1_sel:WORD_1
	v_fmac_f16_e32 v5, v3, v2
	v_fma_f16 v2, v2, v4, -v6
	v_cvt_f32_f16_e32 v3, v5
	v_cvt_f32_f16_e32 v4, v2
	v_cvt_f64_f32_e32 v[2:3], v3
	v_cvt_f64_f32_e32 v[4:5], v4
	v_mul_f64 v[2:3], v[2:3], s[4:5]
	v_mul_f64 v[4:5], v[4:5], s[4:5]
	v_and_or_b32 v2, 0x1ff, v3, v2
	v_and_or_b32 v4, 0x1ff, v5, v4
	v_lshrrev_b32_e32 v6, 8, v3
	v_bfe_u32 v7, v3, 20, 11
	v_lshrrev_b32_e32 v8, 8, v5
	v_cmp_ne_u32_e32 vcc_lo, 0, v2
	v_bfe_u32 v9, v5, 20, 11
	v_lshrrev_b32_e32 v3, 16, v3
	v_sub_nc_u32_e32 v10, 0x3f1, v7
	v_add_nc_u32_e32 v7, 0xfffffc10, v7
	v_cndmask_b32_e64 v2, 0, 1, vcc_lo
	v_cmp_ne_u32_e32 vcc_lo, 0, v4
	v_lshrrev_b32_e32 v5, 16, v5
	v_and_or_b32 v2, 0xffe, v6, v2
	v_cndmask_b32_e64 v4, 0, 1, vcc_lo
	v_sub_nc_u32_e32 v6, 0x3f1, v9
	v_add_nc_u32_e32 v9, 0xfffffc10, v9
	v_and_or_b32 v4, 0xffe, v8, v4
	v_med3_i32 v8, v10, 0, 13
	v_or_b32_e32 v10, 0x1000, v2
	v_med3_i32 v6, v6, 0, 13
	v_or_b32_e32 v11, 0x1000, v4
	v_lshrrev_b32_e32 v12, v8, v10
	v_lshrrev_b32_e32 v13, v6, v11
	v_lshlrev_b32_e32 v8, v8, v12
	v_lshlrev_b32_e32 v6, v6, v13
	v_cmp_ne_u32_e32 vcc_lo, v8, v10
	v_lshl_or_b32 v10, v7, 12, v2
	v_cndmask_b32_e64 v8, 0, 1, vcc_lo
	v_cmp_ne_u32_e32 vcc_lo, v6, v11
	v_lshl_or_b32 v11, v9, 12, v4
	v_or_b32_e32 v8, v12, v8
	v_cndmask_b32_e64 v6, 0, 1, vcc_lo
	v_cmp_gt_i32_e32 vcc_lo, 1, v7
	v_or_b32_e32 v6, v13, v6
	v_cndmask_b32_e32 v8, v10, v8, vcc_lo
	v_cmp_gt_i32_e32 vcc_lo, 1, v9
	v_and_b32_e32 v10, 7, v8
	v_cndmask_b32_e32 v6, v11, v6, vcc_lo
	v_cmp_ne_u32_e32 vcc_lo, 0, v2
	v_lshrrev_b32_e32 v8, 2, v8
	v_cmp_eq_u32_e64 s0, 3, v10
	v_and_b32_e32 v11, 7, v6
	v_cndmask_b32_e64 v2, 0, 1, vcc_lo
	v_cmp_ne_u32_e32 vcc_lo, 0, v4
	v_lshrrev_b32_e32 v6, 2, v6
	v_cmp_lt_i32_e64 s1, 5, v11
	v_cmp_eq_u32_e64 s2, 3, v11
	v_cndmask_b32_e64 v4, 0, 1, vcc_lo
	v_cmp_lt_i32_e32 vcc_lo, 5, v10
	v_lshl_or_b32 v2, v2, 9, 0x7c00
	v_lshl_or_b32 v4, v4, 9, 0x7c00
	s_or_b32 vcc_lo, s0, vcc_lo
	v_add_co_ci_u32_e32 v8, vcc_lo, 0, v8, vcc_lo
	s_or_b32 vcc_lo, s2, s1
	v_add_co_ci_u32_e32 v6, vcc_lo, 0, v6, vcc_lo
	v_cmp_gt_i32_e32 vcc_lo, 31, v7
	v_cndmask_b32_e32 v8, 0x7c00, v8, vcc_lo
	v_cmp_gt_i32_e32 vcc_lo, 31, v9
	v_cndmask_b32_e32 v6, 0x7c00, v6, vcc_lo
	v_cmp_eq_u32_e32 vcc_lo, 0x40f, v7
	v_cndmask_b32_e32 v2, v8, v2, vcc_lo
	v_cmp_eq_u32_e32 vcc_lo, 0x40f, v9
	v_and_or_b32 v2, 0x8000, v3, v2
	v_cndmask_b32_e32 v4, v6, v4, vcc_lo
	v_add_co_u32 v0, vcc_lo, v0, s10
	v_add_co_ci_u32_e32 v1, vcc_lo, s11, v1, vcc_lo
	v_and_or_b32 v3, 0x8000, v5, v4
	v_and_b32_e32 v2, 0xffff, v2
	v_lshl_or_b32 v2, v3, 16, v2
	global_store_dword v[0:1], v2, off
	global_load_dword v4, v[56:57], off offset:344
	ds_read2_b32 v[2:3], v69 offset0:86 offset1:211
	s_waitcnt lgkmcnt(0)
	v_lshrrev_b32_e32 v5, 16, v2
	s_waitcnt vmcnt(0)
	v_mul_f16_sdwa v6, v5, v4 dst_sel:DWORD dst_unused:UNUSED_PAD src0_sel:DWORD src1_sel:WORD_1
	v_mul_f16_sdwa v7, v2, v4 dst_sel:DWORD dst_unused:UNUSED_PAD src0_sel:DWORD src1_sel:WORD_1
	v_fmac_f16_e32 v6, v2, v4
	v_fma_f16 v2, v4, v5, -v7
	v_cvt_f32_f16_e32 v4, v6
	v_cvt_f32_f16_e32 v2, v2
	v_cvt_f64_f32_e32 v[4:5], v4
	v_cvt_f64_f32_e32 v[6:7], v2
	v_mul_f64 v[4:5], v[4:5], s[4:5]
	v_mul_f64 v[6:7], v[6:7], s[4:5]
	v_and_or_b32 v2, 0x1ff, v5, v4
	v_and_or_b32 v6, 0x1ff, v7, v6
	v_lshrrev_b32_e32 v4, 8, v5
	v_bfe_u32 v8, v5, 20, 11
	v_lshrrev_b32_e32 v9, 8, v7
	v_cmp_ne_u32_e32 vcc_lo, 0, v2
	v_bfe_u32 v10, v7, 20, 11
	v_lshrrev_b32_e32 v5, 16, v5
	v_sub_nc_u32_e32 v11, 0x3f1, v8
	v_add_nc_u32_e32 v8, 0xfffffc10, v8
	v_cndmask_b32_e64 v2, 0, 1, vcc_lo
	v_cmp_ne_u32_e32 vcc_lo, 0, v6
	v_lshrrev_b32_e32 v7, 16, v7
	v_and_or_b32 v2, 0xffe, v4, v2
	v_cndmask_b32_e64 v6, 0, 1, vcc_lo
	v_sub_nc_u32_e32 v4, 0x3f1, v10
	v_add_nc_u32_e32 v10, 0xfffffc10, v10
	v_and_or_b32 v6, 0xffe, v9, v6
	v_med3_i32 v9, v11, 0, 13
	v_or_b32_e32 v11, 0x1000, v2
	v_med3_i32 v4, v4, 0, 13
	v_or_b32_e32 v12, 0x1000, v6
	v_lshrrev_b32_e32 v13, v9, v11
	v_lshrrev_b32_e32 v14, v4, v12
	v_lshlrev_b32_e32 v9, v9, v13
	v_lshlrev_b32_e32 v4, v4, v14
	v_cmp_ne_u32_e32 vcc_lo, v9, v11
	v_lshl_or_b32 v11, v8, 12, v2
	v_cndmask_b32_e64 v9, 0, 1, vcc_lo
	v_cmp_ne_u32_e32 vcc_lo, v4, v12
	v_lshl_or_b32 v12, v10, 12, v6
	v_or_b32_e32 v9, v13, v9
	v_cndmask_b32_e64 v4, 0, 1, vcc_lo
	v_cmp_gt_i32_e32 vcc_lo, 1, v8
	v_or_b32_e32 v4, v14, v4
	v_cndmask_b32_e32 v9, v11, v9, vcc_lo
	v_cmp_gt_i32_e32 vcc_lo, 1, v10
	v_and_b32_e32 v11, 7, v9
	v_cndmask_b32_e32 v4, v12, v4, vcc_lo
	v_cmp_ne_u32_e32 vcc_lo, 0, v2
	v_lshrrev_b32_e32 v9, 2, v9
	v_cmp_eq_u32_e64 s0, 3, v11
	v_and_b32_e32 v12, 7, v4
	v_cndmask_b32_e64 v2, 0, 1, vcc_lo
	v_cmp_ne_u32_e32 vcc_lo, 0, v6
	v_lshrrev_b32_e32 v4, 2, v4
	v_cmp_lt_i32_e64 s1, 5, v12
	v_cmp_eq_u32_e64 s2, 3, v12
	v_cndmask_b32_e64 v6, 0, 1, vcc_lo
	v_cmp_lt_i32_e32 vcc_lo, 5, v11
	v_lshl_or_b32 v2, v2, 9, 0x7c00
	v_lshl_or_b32 v6, v6, 9, 0x7c00
	s_or_b32 vcc_lo, s0, vcc_lo
	v_add_co_ci_u32_e32 v9, vcc_lo, 0, v9, vcc_lo
	s_or_b32 vcc_lo, s2, s1
	v_add_co_ci_u32_e32 v4, vcc_lo, 0, v4, vcc_lo
	v_cmp_gt_i32_e32 vcc_lo, 31, v8
	v_cndmask_b32_e32 v9, 0x7c00, v9, vcc_lo
	v_cmp_gt_i32_e32 vcc_lo, 31, v10
	v_cndmask_b32_e32 v4, 0x7c00, v4, vcc_lo
	v_cmp_eq_u32_e32 vcc_lo, 0x40f, v8
	v_cndmask_b32_e32 v2, v9, v2, vcc_lo
	v_cmp_eq_u32_e32 vcc_lo, 0x40f, v10
	v_and_or_b32 v2, 0x8000, v5, v2
	v_cndmask_b32_e32 v4, v4, v6, vcc_lo
	v_add_co_u32 v0, vcc_lo, v0, s10
	v_add_co_ci_u32_e32 v1, vcc_lo, s11, v1, vcc_lo
	v_and_or_b32 v4, 0x8000, v7, v4
	v_and_b32_e32 v2, 0xffff, v2
	v_lshl_or_b32 v2, v4, 16, v2
	v_lshrrev_b32_e32 v4, 16, v3
	global_store_dword v[0:1], v2, off
	global_load_dword v2, v[56:57], off offset:844
	s_waitcnt vmcnt(0)
	v_mul_f16_sdwa v5, v4, v2 dst_sel:DWORD dst_unused:UNUSED_PAD src0_sel:DWORD src1_sel:WORD_1
	v_mul_f16_sdwa v6, v3, v2 dst_sel:DWORD dst_unused:UNUSED_PAD src0_sel:DWORD src1_sel:WORD_1
	v_fmac_f16_e32 v5, v3, v2
	v_fma_f16 v2, v2, v4, -v6
	v_cvt_f32_f16_e32 v3, v5
	v_cvt_f32_f16_e32 v4, v2
	v_cvt_f64_f32_e32 v[2:3], v3
	v_cvt_f64_f32_e32 v[4:5], v4
	v_mul_f64 v[2:3], v[2:3], s[4:5]
	v_mul_f64 v[4:5], v[4:5], s[4:5]
	v_and_or_b32 v2, 0x1ff, v3, v2
	v_and_or_b32 v4, 0x1ff, v5, v4
	v_lshrrev_b32_e32 v6, 8, v3
	v_bfe_u32 v7, v3, 20, 11
	v_lshrrev_b32_e32 v8, 8, v5
	v_cmp_ne_u32_e32 vcc_lo, 0, v2
	v_bfe_u32 v9, v5, 20, 11
	v_lshrrev_b32_e32 v3, 16, v3
	v_sub_nc_u32_e32 v10, 0x3f1, v7
	v_add_nc_u32_e32 v7, 0xfffffc10, v7
	v_cndmask_b32_e64 v2, 0, 1, vcc_lo
	v_cmp_ne_u32_e32 vcc_lo, 0, v4
	v_lshrrev_b32_e32 v5, 16, v5
	v_and_or_b32 v2, 0xffe, v6, v2
	v_cndmask_b32_e64 v4, 0, 1, vcc_lo
	v_sub_nc_u32_e32 v6, 0x3f1, v9
	v_add_nc_u32_e32 v9, 0xfffffc10, v9
	v_and_or_b32 v4, 0xffe, v8, v4
	v_med3_i32 v8, v10, 0, 13
	v_or_b32_e32 v10, 0x1000, v2
	v_med3_i32 v6, v6, 0, 13
	v_or_b32_e32 v11, 0x1000, v4
	v_lshrrev_b32_e32 v12, v8, v10
	v_lshrrev_b32_e32 v13, v6, v11
	v_lshlrev_b32_e32 v8, v8, v12
	v_lshlrev_b32_e32 v6, v6, v13
	v_cmp_ne_u32_e32 vcc_lo, v8, v10
	v_lshl_or_b32 v10, v7, 12, v2
	v_cndmask_b32_e64 v8, 0, 1, vcc_lo
	v_cmp_ne_u32_e32 vcc_lo, v6, v11
	v_lshl_or_b32 v11, v9, 12, v4
	v_or_b32_e32 v8, v12, v8
	v_cndmask_b32_e64 v6, 0, 1, vcc_lo
	v_cmp_gt_i32_e32 vcc_lo, 1, v7
	v_or_b32_e32 v6, v13, v6
	v_cndmask_b32_e32 v8, v10, v8, vcc_lo
	v_cmp_gt_i32_e32 vcc_lo, 1, v9
	v_and_b32_e32 v10, 7, v8
	v_cndmask_b32_e32 v6, v11, v6, vcc_lo
	v_cmp_ne_u32_e32 vcc_lo, 0, v2
	v_lshrrev_b32_e32 v8, 2, v8
	v_cmp_eq_u32_e64 s0, 3, v10
	v_and_b32_e32 v11, 7, v6
	v_cndmask_b32_e64 v2, 0, 1, vcc_lo
	v_cmp_ne_u32_e32 vcc_lo, 0, v4
	v_lshrrev_b32_e32 v6, 2, v6
	v_cmp_lt_i32_e64 s1, 5, v11
	v_cmp_eq_u32_e64 s2, 3, v11
	v_cndmask_b32_e64 v4, 0, 1, vcc_lo
	v_cmp_lt_i32_e32 vcc_lo, 5, v10
	v_lshl_or_b32 v2, v2, 9, 0x7c00
	v_lshl_or_b32 v4, v4, 9, 0x7c00
	s_or_b32 vcc_lo, s0, vcc_lo
	v_add_co_ci_u32_e32 v8, vcc_lo, 0, v8, vcc_lo
	s_or_b32 vcc_lo, s2, s1
	v_add_co_ci_u32_e32 v6, vcc_lo, 0, v6, vcc_lo
	v_cmp_gt_i32_e32 vcc_lo, 31, v7
	v_cndmask_b32_e32 v8, 0x7c00, v8, vcc_lo
	v_cmp_gt_i32_e32 vcc_lo, 31, v9
	v_cndmask_b32_e32 v6, 0x7c00, v6, vcc_lo
	v_cmp_eq_u32_e32 vcc_lo, 0x40f, v7
	v_cndmask_b32_e32 v2, v8, v2, vcc_lo
	v_cmp_eq_u32_e32 vcc_lo, 0x40f, v9
	v_and_or_b32 v2, 0x8000, v3, v2
	v_cndmask_b32_e32 v4, v6, v4, vcc_lo
	v_add_co_u32 v0, vcc_lo, v0, s10
	v_add_co_ci_u32_e32 v1, vcc_lo, s11, v1, vcc_lo
	v_and_or_b32 v3, 0x8000, v5, v4
	v_and_b32_e32 v2, 0xffff, v2
	v_lshl_or_b32 v2, v3, 16, v2
	v_lshlrev_b32_e32 v3, 2, v96
	global_store_dword v[0:1], v2, off
	global_load_dword v0, v3, s[6:7]
	ds_read_b32 v1, v95 offset:5440
	s_waitcnt lgkmcnt(0)
	v_lshrrev_b32_e32 v2, 16, v1
	s_waitcnt vmcnt(0)
	v_mul_f16_sdwa v3, v2, v0 dst_sel:DWORD dst_unused:UNUSED_PAD src0_sel:DWORD src1_sel:WORD_1
	v_mul_f16_sdwa v4, v1, v0 dst_sel:DWORD dst_unused:UNUSED_PAD src0_sel:DWORD src1_sel:WORD_1
	v_fmac_f16_e32 v3, v1, v0
	v_fma_f16 v0, v0, v2, -v4
	v_cvt_f32_f16_e32 v1, v3
	v_cvt_f32_f16_e32 v2, v0
	v_cvt_f64_f32_e32 v[0:1], v1
	v_cvt_f64_f32_e32 v[2:3], v2
	v_mul_f64 v[0:1], v[0:1], s[4:5]
	v_mul_f64 v[2:3], v[2:3], s[4:5]
	v_and_or_b32 v0, 0x1ff, v1, v0
	v_and_or_b32 v2, 0x1ff, v3, v2
	v_lshrrev_b32_e32 v4, 8, v1
	v_bfe_u32 v6, v1, 20, 11
	v_bfe_u32 v7, v3, 20, 11
	v_cmp_ne_u32_e32 vcc_lo, 0, v0
	v_lshrrev_b32_e32 v5, 8, v3
	v_lshrrev_b32_e32 v3, 16, v3
	v_sub_nc_u32_e32 v8, 0x3f1, v6
	v_sub_nc_u32_e32 v9, 0x3f1, v7
	v_cndmask_b32_e64 v0, 0, 1, vcc_lo
	v_cmp_ne_u32_e32 vcc_lo, 0, v2
	v_add_nc_u32_e32 v7, 0xfffffc10, v7
	v_and_or_b32 v10, 0xffe, v4, v0
	v_cndmask_b32_e64 v2, 0, 1, vcc_lo
	v_med3_i32 v0, v8, 0, 13
	v_med3_i32 v8, v9, 0, 13
	v_or_b32_e32 v9, 0x1000, v10
	v_and_or_b32 v2, 0xffe, v5, v2
	v_mad_u64_u32 v[4:5], null, s8, v96, 0
	v_lshrrev_b32_e32 v12, v0, v9
	v_or_b32_e32 v11, 0x1000, v2
	v_lshlrev_b32_e32 v14, v0, v12
	v_lshrrev_b32_e32 v13, v8, v11
	v_mov_b32_e32 v0, v5
	v_cmp_ne_u32_e32 vcc_lo, v14, v9
	v_lshlrev_b32_e32 v5, v8, v13
	v_add_nc_u32_e32 v8, 0xfffffc10, v6
	v_cndmask_b32_e64 v9, 0, 1, vcc_lo
	v_cmp_ne_u32_e32 vcc_lo, v5, v11
	v_mad_u64_u32 v[5:6], null, s9, v96, v[0:1]
	v_lshl_or_b32 v0, v8, 12, v10
	v_or_b32_e32 v6, v12, v9
	v_cndmask_b32_e64 v11, 0, 1, vcc_lo
	v_cmp_gt_i32_e32 vcc_lo, 1, v8
	v_lshl_or_b32 v9, v7, 12, v2
	v_lshrrev_b32_e32 v1, 16, v1
	v_or_b32_e32 v11, v13, v11
	v_cndmask_b32_e32 v0, v0, v6, vcc_lo
	v_cmp_gt_i32_e32 vcc_lo, 1, v7
	v_cndmask_b32_e32 v6, v9, v11, vcc_lo
	v_cmp_ne_u32_e32 vcc_lo, 0, v10
	v_and_b32_e32 v10, 7, v0
	v_lshrrev_b32_e32 v0, 2, v0
	v_and_b32_e32 v11, 7, v6
	v_cndmask_b32_e64 v9, 0, 1, vcc_lo
	v_cmp_ne_u32_e32 vcc_lo, 0, v2
	v_cmp_eq_u32_e64 s0, 3, v10
	v_lshrrev_b32_e32 v6, 2, v6
	v_cmp_lt_i32_e64 s1, 5, v11
	v_cmp_eq_u32_e64 s2, 3, v11
	v_cndmask_b32_e64 v2, 0, 1, vcc_lo
	v_cmp_lt_i32_e32 vcc_lo, 5, v10
	v_lshl_or_b32 v9, v9, 9, 0x7c00
	v_lshl_or_b32 v2, v2, 9, 0x7c00
	s_or_b32 vcc_lo, s0, vcc_lo
	v_add_co_ci_u32_e32 v0, vcc_lo, 0, v0, vcc_lo
	s_or_b32 vcc_lo, s2, s1
	v_add_co_ci_u32_e32 v6, vcc_lo, 0, v6, vcc_lo
	v_cmp_gt_i32_e32 vcc_lo, 31, v8
	v_cndmask_b32_e32 v0, 0x7c00, v0, vcc_lo
	v_cmp_gt_i32_e32 vcc_lo, 31, v7
	v_cndmask_b32_e32 v6, 0x7c00, v6, vcc_lo
	v_cmp_eq_u32_e32 vcc_lo, 0x40f, v8
	v_cndmask_b32_e32 v0, v0, v9, vcc_lo
	v_cmp_eq_u32_e32 vcc_lo, 0x40f, v7
	v_and_or_b32 v0, 0x8000, v1, v0
	v_cndmask_b32_e32 v2, v6, v2, vcc_lo
	v_and_or_b32 v2, 0x8000, v3, v2
	v_and_b32_e32 v3, 0xffff, v0
	v_lshlrev_b64 v[0:1], 2, v[4:5]
	v_lshl_or_b32 v2, v2, 16, v3
	v_add_co_u32 v0, vcc_lo, v17, v0
	v_add_co_ci_u32_e32 v1, vcc_lo, v18, v1, vcc_lo
	global_store_dword v[0:1], v2, off
.LBB0_15:
	s_endpgm
	.section	.rodata,"a",@progbits
	.p2align	6, 0x0
	.amdhsa_kernel bluestein_single_fwd_len1375_dim1_half_op_CI_CI
		.amdhsa_group_segment_fixed_size 5500
		.amdhsa_private_segment_fixed_size 0
		.amdhsa_kernarg_size 104
		.amdhsa_user_sgpr_count 6
		.amdhsa_user_sgpr_private_segment_buffer 1
		.amdhsa_user_sgpr_dispatch_ptr 0
		.amdhsa_user_sgpr_queue_ptr 0
		.amdhsa_user_sgpr_kernarg_segment_ptr 1
		.amdhsa_user_sgpr_dispatch_id 0
		.amdhsa_user_sgpr_flat_scratch_init 0
		.amdhsa_user_sgpr_private_segment_size 0
		.amdhsa_wavefront_size32 1
		.amdhsa_uses_dynamic_stack 0
		.amdhsa_system_sgpr_private_segment_wavefront_offset 0
		.amdhsa_system_sgpr_workgroup_id_x 1
		.amdhsa_system_sgpr_workgroup_id_y 0
		.amdhsa_system_sgpr_workgroup_id_z 0
		.amdhsa_system_sgpr_workgroup_info 0
		.amdhsa_system_vgpr_workitem_id 0
		.amdhsa_next_free_vgpr 197
		.amdhsa_next_free_sgpr 18
		.amdhsa_reserve_vcc 1
		.amdhsa_reserve_flat_scratch 0
		.amdhsa_float_round_mode_32 0
		.amdhsa_float_round_mode_16_64 0
		.amdhsa_float_denorm_mode_32 3
		.amdhsa_float_denorm_mode_16_64 3
		.amdhsa_dx10_clamp 1
		.amdhsa_ieee_mode 1
		.amdhsa_fp16_overflow 0
		.amdhsa_workgroup_processor_mode 1
		.amdhsa_memory_ordered 1
		.amdhsa_forward_progress 0
		.amdhsa_shared_vgpr_count 0
		.amdhsa_exception_fp_ieee_invalid_op 0
		.amdhsa_exception_fp_denorm_src 0
		.amdhsa_exception_fp_ieee_div_zero 0
		.amdhsa_exception_fp_ieee_overflow 0
		.amdhsa_exception_fp_ieee_underflow 0
		.amdhsa_exception_fp_ieee_inexact 0
		.amdhsa_exception_int_div_zero 0
	.end_amdhsa_kernel
	.text
.Lfunc_end0:
	.size	bluestein_single_fwd_len1375_dim1_half_op_CI_CI, .Lfunc_end0-bluestein_single_fwd_len1375_dim1_half_op_CI_CI
                                        ; -- End function
	.section	.AMDGPU.csdata,"",@progbits
; Kernel info:
; codeLenInByte = 56668
; NumSgprs: 20
; NumVgprs: 197
; ScratchSize: 0
; MemoryBound: 0
; FloatMode: 240
; IeeeMode: 1
; LDSByteSize: 5500 bytes/workgroup (compile time only)
; SGPRBlocks: 2
; VGPRBlocks: 24
; NumSGPRsForWavesPerEU: 20
; NumVGPRsForWavesPerEU: 197
; Occupancy: 4
; WaveLimiterHint : 1
; COMPUTE_PGM_RSRC2:SCRATCH_EN: 0
; COMPUTE_PGM_RSRC2:USER_SGPR: 6
; COMPUTE_PGM_RSRC2:TRAP_HANDLER: 0
; COMPUTE_PGM_RSRC2:TGID_X_EN: 1
; COMPUTE_PGM_RSRC2:TGID_Y_EN: 0
; COMPUTE_PGM_RSRC2:TGID_Z_EN: 0
; COMPUTE_PGM_RSRC2:TIDIG_COMP_CNT: 0
	.text
	.p2alignl 6, 3214868480
	.fill 48, 4, 3214868480
	.type	__hip_cuid_79c73a5b0edb288a,@object ; @__hip_cuid_79c73a5b0edb288a
	.section	.bss,"aw",@nobits
	.globl	__hip_cuid_79c73a5b0edb288a
__hip_cuid_79c73a5b0edb288a:
	.byte	0                               ; 0x0
	.size	__hip_cuid_79c73a5b0edb288a, 1

	.ident	"AMD clang version 19.0.0git (https://github.com/RadeonOpenCompute/llvm-project roc-6.4.0 25133 c7fe45cf4b819c5991fe208aaa96edf142730f1d)"
	.section	".note.GNU-stack","",@progbits
	.addrsig
	.addrsig_sym __hip_cuid_79c73a5b0edb288a
	.amdgpu_metadata
---
amdhsa.kernels:
  - .args:
      - .actual_access:  read_only
        .address_space:  global
        .offset:         0
        .size:           8
        .value_kind:     global_buffer
      - .actual_access:  read_only
        .address_space:  global
        .offset:         8
        .size:           8
        .value_kind:     global_buffer
      - .actual_access:  read_only
        .address_space:  global
        .offset:         16
        .size:           8
        .value_kind:     global_buffer
      - .actual_access:  read_only
        .address_space:  global
        .offset:         24
        .size:           8
        .value_kind:     global_buffer
      - .actual_access:  read_only
        .address_space:  global
        .offset:         32
        .size:           8
        .value_kind:     global_buffer
      - .offset:         40
        .size:           8
        .value_kind:     by_value
      - .address_space:  global
        .offset:         48
        .size:           8
        .value_kind:     global_buffer
      - .address_space:  global
        .offset:         56
        .size:           8
        .value_kind:     global_buffer
      - .address_space:  global
        .offset:         64
        .size:           8
        .value_kind:     global_buffer
      - .address_space:  global
        .offset:         72
        .size:           8
        .value_kind:     global_buffer
      - .offset:         80
        .size:           4
        .value_kind:     by_value
      - .address_space:  global
        .offset:         88
        .size:           8
        .value_kind:     global_buffer
      - .address_space:  global
        .offset:         96
        .size:           8
        .value_kind:     global_buffer
    .group_segment_fixed_size: 5500
    .kernarg_segment_align: 8
    .kernarg_segment_size: 104
    .language:       OpenCL C
    .language_version:
      - 2
      - 0
    .max_flat_workgroup_size: 55
    .name:           bluestein_single_fwd_len1375_dim1_half_op_CI_CI
    .private_segment_fixed_size: 0
    .sgpr_count:     20
    .sgpr_spill_count: 0
    .symbol:         bluestein_single_fwd_len1375_dim1_half_op_CI_CI.kd
    .uniform_work_group_size: 1
    .uses_dynamic_stack: false
    .vgpr_count:     197
    .vgpr_spill_count: 0
    .wavefront_size: 32
    .workgroup_processor_mode: 1
amdhsa.target:   amdgcn-amd-amdhsa--gfx1030
amdhsa.version:
  - 1
  - 2
...

	.end_amdgpu_metadata
